;; amdgpu-corpus repo=ROCm/rocFFT kind=compiled arch=gfx950 opt=O3
	.text
	.amdgcn_target "amdgcn-amd-amdhsa--gfx950"
	.amdhsa_code_object_version 6
	.protected	fft_rtc_fwd_len204_factors_17_4_3_wgs_119_tpt_17_halfLds_sp_ip_CI_unitstride_sbrr_C2R_dirReg ; -- Begin function fft_rtc_fwd_len204_factors_17_4_3_wgs_119_tpt_17_halfLds_sp_ip_CI_unitstride_sbrr_C2R_dirReg
	.globl	fft_rtc_fwd_len204_factors_17_4_3_wgs_119_tpt_17_halfLds_sp_ip_CI_unitstride_sbrr_C2R_dirReg
	.p2align	8
	.type	fft_rtc_fwd_len204_factors_17_4_3_wgs_119_tpt_17_halfLds_sp_ip_CI_unitstride_sbrr_C2R_dirReg,@function
fft_rtc_fwd_len204_factors_17_4_3_wgs_119_tpt_17_halfLds_sp_ip_CI_unitstride_sbrr_C2R_dirReg: ; @fft_rtc_fwd_len204_factors_17_4_3_wgs_119_tpt_17_halfLds_sp_ip_CI_unitstride_sbrr_C2R_dirReg
; %bb.0:
	s_load_dwordx2 s[8:9], s[0:1], 0x50
	s_load_dwordx4 s[4:7], s[0:1], 0x0
	s_load_dwordx2 s[10:11], s[0:1], 0x18
	v_mul_u32_u24_e32 v1, 0xf10, v0
	v_lshrrev_b32_e32 v2, 16, v1
	v_mad_u64_u32 v[2:3], s[2:3], s2, 7, v[2:3]
	v_mov_b32_e32 v6, 0
	v_mov_b32_e32 v3, v6
	s_waitcnt lgkmcnt(0)
	v_cmp_lt_u64_e64 s[2:3], s[6:7], 2
	s_and_b64 vcc, exec, s[2:3]
	v_mov_b64_e32 v[4:5], 0
	v_mov_b64_e32 v[10:11], v[2:3]
	s_cbranch_vccnz .LBB0_8
; %bb.1:
	s_load_dwordx2 s[2:3], s[0:1], 0x10
	s_add_u32 s12, s10, 8
	s_addc_u32 s13, s11, 0
	s_mov_b64 s[14:15], 1
	v_mov_b64_e32 v[4:5], 0
	s_waitcnt lgkmcnt(0)
	s_add_u32 s16, s2, 8
	s_addc_u32 s17, s3, 0
	v_mov_b64_e32 v[8:9], v[2:3]
.LBB0_2:                                ; =>This Inner Loop Header: Depth=1
	s_load_dwordx2 s[18:19], s[16:17], 0x0
                                        ; implicit-def: $vgpr10_vgpr11
	s_waitcnt lgkmcnt(0)
	v_or_b32_e32 v7, s19, v9
	v_cmp_ne_u64_e32 vcc, 0, v[6:7]
	s_and_saveexec_b64 s[2:3], vcc
	s_xor_b64 s[20:21], exec, s[2:3]
	s_cbranch_execz .LBB0_4
; %bb.3:                                ;   in Loop: Header=BB0_2 Depth=1
	v_cvt_f32_u32_e32 v1, s18
	v_cvt_f32_u32_e32 v3, s19
	s_sub_u32 s2, 0, s18
	s_subb_u32 s3, 0, s19
	v_fmac_f32_e32 v1, 0x4f800000, v3
	v_rcp_f32_e32 v1, v1
	s_nop 0
	v_mul_f32_e32 v1, 0x5f7ffffc, v1
	v_mul_f32_e32 v3, 0x2f800000, v1
	v_trunc_f32_e32 v3, v3
	v_fmac_f32_e32 v1, 0xcf800000, v3
	v_cvt_u32_f32_e32 v3, v3
	v_cvt_u32_f32_e32 v1, v1
	v_mul_lo_u32 v7, s2, v3
	v_mul_hi_u32 v10, s2, v1
	v_mul_lo_u32 v11, s3, v1
	v_add_u32_e32 v7, v10, v7
	v_mul_lo_u32 v14, s2, v1
	v_add_u32_e32 v7, v7, v11
	v_mul_hi_u32 v10, v1, v14
	v_mul_hi_u32 v13, v1, v7
	v_mul_lo_u32 v12, v1, v7
	v_mov_b32_e32 v11, v6
	v_lshl_add_u64 v[10:11], v[10:11], 0, v[12:13]
	v_mul_hi_u32 v13, v3, v14
	v_mul_lo_u32 v14, v3, v14
	v_add_co_u32_e32 v10, vcc, v10, v14
	v_mul_hi_u32 v12, v3, v7
	s_nop 0
	v_addc_co_u32_e32 v10, vcc, v11, v13, vcc
	v_mov_b32_e32 v11, v6
	s_nop 0
	v_addc_co_u32_e32 v13, vcc, 0, v12, vcc
	v_mul_lo_u32 v12, v3, v7
	v_lshl_add_u64 v[10:11], v[10:11], 0, v[12:13]
	v_add_co_u32_e32 v1, vcc, v1, v10
	v_mul_hi_u32 v10, s2, v1
	s_nop 0
	v_addc_co_u32_e32 v3, vcc, v3, v11, vcc
	v_mul_lo_u32 v7, s2, v3
	v_add_u32_e32 v7, v10, v7
	v_mul_lo_u32 v10, s3, v1
	v_add_u32_e32 v7, v7, v10
	v_mul_lo_u32 v12, s2, v1
	v_mul_hi_u32 v15, v3, v12
	v_mul_lo_u32 v16, v3, v12
	v_mul_hi_u32 v11, v1, v7
	;; [unrolled: 2-line block ×3, first 2 shown]
	v_mov_b32_e32 v13, v6
	v_lshl_add_u64 v[10:11], v[12:13], 0, v[10:11]
	v_add_co_u32_e32 v10, vcc, v10, v16
	v_mul_hi_u32 v14, v3, v7
	s_nop 0
	v_addc_co_u32_e32 v10, vcc, v11, v15, vcc
	v_mul_lo_u32 v12, v3, v7
	s_nop 0
	v_addc_co_u32_e32 v13, vcc, 0, v14, vcc
	v_mov_b32_e32 v11, v6
	v_lshl_add_u64 v[10:11], v[10:11], 0, v[12:13]
	v_add_co_u32_e32 v1, vcc, v1, v10
	v_mul_hi_u32 v12, v8, v1
	s_nop 0
	v_addc_co_u32_e32 v3, vcc, v3, v11, vcc
	v_mad_u64_u32 v[10:11], s[2:3], v8, v3, 0
	v_mov_b32_e32 v13, v6
	v_lshl_add_u64 v[10:11], v[12:13], 0, v[10:11]
	v_mad_u64_u32 v[14:15], s[2:3], v9, v1, 0
	v_add_co_u32_e32 v1, vcc, v10, v14
	v_mad_u64_u32 v[12:13], s[2:3], v9, v3, 0
	s_nop 0
	v_addc_co_u32_e32 v10, vcc, v11, v15, vcc
	v_mov_b32_e32 v11, v6
	s_nop 0
	v_addc_co_u32_e32 v13, vcc, 0, v13, vcc
	v_lshl_add_u64 v[10:11], v[10:11], 0, v[12:13]
	v_mul_lo_u32 v1, s19, v10
	v_mul_lo_u32 v3, s18, v11
	v_mad_u64_u32 v[12:13], s[2:3], s18, v10, 0
	v_add3_u32 v1, v13, v3, v1
	v_sub_u32_e32 v3, v9, v1
	v_mov_b32_e32 v7, s19
	v_sub_co_u32_e32 v16, vcc, v8, v12
	v_lshl_add_u64 v[14:15], v[10:11], 0, 1
	s_nop 0
	v_subb_co_u32_e64 v3, s[2:3], v3, v7, vcc
	v_subrev_co_u32_e64 v7, s[2:3], s18, v16
	v_subb_co_u32_e32 v1, vcc, v9, v1, vcc
	s_nop 0
	v_subbrev_co_u32_e64 v3, s[2:3], 0, v3, s[2:3]
	v_cmp_le_u32_e64 s[2:3], s19, v3
	v_cmp_le_u32_e32 vcc, s19, v1
	s_nop 0
	v_cndmask_b32_e64 v12, 0, -1, s[2:3]
	v_cmp_le_u32_e64 s[2:3], s18, v7
	s_nop 1
	v_cndmask_b32_e64 v7, 0, -1, s[2:3]
	v_cmp_eq_u32_e64 s[2:3], s19, v3
	s_nop 1
	v_cndmask_b32_e64 v3, v12, v7, s[2:3]
	v_lshl_add_u64 v[12:13], v[10:11], 0, 2
	v_cmp_ne_u32_e64 s[2:3], 0, v3
	v_cndmask_b32_e64 v7, 0, -1, vcc
	v_cmp_le_u32_e32 vcc, s18, v16
	v_cndmask_b32_e64 v3, v15, v13, s[2:3]
	s_nop 0
	v_cndmask_b32_e64 v13, 0, -1, vcc
	v_cmp_eq_u32_e32 vcc, s19, v1
	s_nop 1
	v_cndmask_b32_e32 v1, v7, v13, vcc
	v_cmp_ne_u32_e32 vcc, 0, v1
	v_cndmask_b32_e64 v1, v14, v12, s[2:3]
	s_nop 0
	v_cndmask_b32_e32 v11, v11, v3, vcc
	v_cndmask_b32_e32 v10, v10, v1, vcc
.LBB0_4:                                ;   in Loop: Header=BB0_2 Depth=1
	s_andn2_saveexec_b64 s[2:3], s[20:21]
	s_cbranch_execz .LBB0_6
; %bb.5:                                ;   in Loop: Header=BB0_2 Depth=1
	v_cvt_f32_u32_e32 v1, s18
	s_sub_i32 s20, 0, s18
	v_mov_b32_e32 v11, v6
	v_rcp_iflag_f32_e32 v1, v1
	s_nop 0
	v_mul_f32_e32 v1, 0x4f7ffffe, v1
	v_cvt_u32_f32_e32 v1, v1
	v_mul_lo_u32 v3, s20, v1
	v_mul_hi_u32 v3, v1, v3
	v_add_u32_e32 v1, v1, v3
	v_mul_hi_u32 v1, v8, v1
	v_mul_lo_u32 v3, v1, s18
	v_sub_u32_e32 v3, v8, v3
	v_add_u32_e32 v7, 1, v1
	v_subrev_u32_e32 v10, s18, v3
	v_cmp_le_u32_e32 vcc, s18, v3
	s_nop 1
	v_cndmask_b32_e32 v3, v3, v10, vcc
	v_cndmask_b32_e32 v1, v1, v7, vcc
	v_add_u32_e32 v7, 1, v1
	v_cmp_le_u32_e32 vcc, s18, v3
	s_nop 1
	v_cndmask_b32_e32 v10, v1, v7, vcc
.LBB0_6:                                ;   in Loop: Header=BB0_2 Depth=1
	s_or_b64 exec, exec, s[2:3]
	v_mad_u64_u32 v[12:13], s[2:3], v10, s18, 0
	s_load_dwordx2 s[2:3], s[12:13], 0x0
	s_add_u32 s14, s14, 1
	v_mul_lo_u32 v1, v11, s18
	v_mul_lo_u32 v3, v10, s19
	s_addc_u32 s15, s15, 0
	v_add3_u32 v1, v13, v3, v1
	v_sub_co_u32_e32 v3, vcc, v8, v12
	s_add_u32 s12, s12, 8
	s_nop 0
	v_subb_co_u32_e32 v1, vcc, v9, v1, vcc
	s_addc_u32 s13, s13, 0
	v_mov_b64_e32 v[8:9], s[6:7]
	s_waitcnt lgkmcnt(0)
	v_mul_lo_u32 v1, s2, v1
	v_mul_lo_u32 v7, s3, v3
	v_mad_u64_u32 v[4:5], s[2:3], s2, v3, v[4:5]
	s_add_u32 s16, s16, 8
	v_cmp_ge_u64_e32 vcc, s[14:15], v[8:9]
	v_add3_u32 v5, v7, v5, v1
	s_addc_u32 s17, s17, 0
	s_cbranch_vccnz .LBB0_8
; %bb.7:                                ;   in Loop: Header=BB0_2 Depth=1
	v_mov_b64_e32 v[8:9], v[10:11]
	s_branch .LBB0_2
.LBB0_8:
	s_lshl_b64 s[2:3], s[6:7], 3
	s_add_u32 s2, s10, s2
	s_addc_u32 s3, s11, s3
	s_load_dwordx2 s[6:7], s[2:3], 0x0
	s_load_dwordx2 s[10:11], s[0:1], 0x20
	s_waitcnt lgkmcnt(0)
	v_mad_u64_u32 v[6:7], s[0:1], s6, v10, v[4:5]
	v_mul_lo_u32 v1, s6, v11
	v_mul_lo_u32 v3, s7, v10
	s_mov_b32 s0, 0x24924925
	v_add3_u32 v7, v3, v7, v1
	v_mul_hi_u32 v1, v2, s0
	v_sub_u32_e32 v3, v2, v1
	v_lshrrev_b32_e32 v3, 1, v3
	v_add_u32_e32 v1, v3, v1
	v_lshrrev_b32_e32 v1, 2, v1
	v_mul_lo_u32 v1, v1, 7
	v_sub_u32_e32 v1, v2, v1
	s_mov_b32 s0, 0xf0f0f10
	v_mul_u32_u24_e32 v4, 0xcd, v1
	v_mul_hi_u32 v1, v0, s0
	v_mul_u32_u24_e32 v1, 17, v1
	v_cmp_gt_u64_e32 vcc, s[10:11], v[10:11]
	v_sub_u32_e32 v34, v0, v1
	v_lshl_add_u64 v[60:61], v[6:7], 3, s[8:9]
	v_lshlrev_b32_e32 v64, 3, v4
	s_and_saveexec_b64 s[2:3], vcc
	s_cbranch_execz .LBB0_12
; %bb.9:
	v_mov_b32_e32 v35, 0
	v_lshl_add_u64 v[0:1], v[34:35], 3, v[60:61]
	global_load_dwordx2 v[2:3], v[0:1], off
	global_load_dwordx2 v[6:7], v[0:1], off offset:136
	global_load_dwordx2 v[8:9], v[0:1], off offset:272
	;; [unrolled: 1-line block ×11, first 2 shown]
	v_lshlrev_b32_e32 v0, 3, v34
	v_add3_u32 v0, 0, v64, v0
	v_cmp_eq_u32_e64 s[0:1], 16, v34
	s_waitcnt vmcnt(10)
	ds_write2_b64 v0, v[2:3], v[6:7] offset1:17
	s_waitcnt vmcnt(8)
	ds_write2_b64 v0, v[8:9], v[10:11] offset0:34 offset1:51
	s_waitcnt vmcnt(6)
	ds_write2_b64 v0, v[12:13], v[14:15] offset0:68 offset1:85
	;; [unrolled: 2-line block ×5, first 2 shown]
	s_and_saveexec_b64 s[6:7], s[0:1]
	s_cbranch_execz .LBB0_11
; %bb.10:
	global_load_dwordx2 v[2:3], v[60:61], off offset:1632
	v_mov_b32_e32 v34, 16
	s_waitcnt vmcnt(0)
	ds_write_b64 v0, v[2:3] offset:1504
.LBB0_11:
	s_or_b64 exec, exec, s[6:7]
.LBB0_12:
	s_or_b64 exec, exec, s[2:3]
	v_lshl_add_u32 v62, v4, 3, 0
	v_lshlrev_b32_e32 v0, 3, v34
	v_add_u32_e32 v53, v62, v0
	s_waitcnt lgkmcnt(0)
	s_barrier
	v_sub_u32_e32 v5, v62, v0
	ds_read_b32 v1, v53
	ds_read_b32 v2, v5 offset:1632
	v_cmp_ne_u32_e64 s[0:1], 0, v34
	s_waitcnt lgkmcnt(0)
	v_add_f32_e32 v0, v2, v1
	v_sub_f32_e32 v1, v1, v2
                                        ; implicit-def: $vgpr2_vgpr3
	s_and_saveexec_b64 s[2:3], s[0:1]
	s_xor_b64 s[0:1], exec, s[2:3]
	s_cbranch_execz .LBB0_14
; %bb.13:
	v_mov_b32_e32 v35, 0
	v_lshl_add_u64 v[2:3], v[34:35], 3, s[4:5]
	global_load_dwordx2 v[6:7], v[2:3], off offset:1496
	ds_read_b32 v11, v5 offset:1636
	ds_read_b32 v12, v53 offset:4
	v_mov_b32_e32 v8, v1
	v_mov_b32_e32 v10, v0
	;; [unrolled: 1-line block ×3, first 2 shown]
	v_mov_b64_e32 v[2:3], v[34:35]
	s_waitcnt lgkmcnt(0)
	v_add_f32_e32 v9, v11, v12
	v_sub_f32_e32 v11, v12, v11
	v_mov_b32_e32 v12, v9
	s_waitcnt vmcnt(0)
	v_pk_mul_f32 v[14:15], v[8:9], v[6:7] op_sel:[0,1]
	v_pk_fma_f32 v[8:9], v[8:9], v[6:7], v[10:11] op_sel:[0,1,0]
	v_mov_b32_e32 v1, v15
	v_mov_b32_e32 v15, v11
	v_pk_fma_f32 v[16:17], v[6:7], v[12:13], v[8:9] neg_lo:[1,0,0] neg_hi:[1,0,0]
	v_pk_fma_f32 v[8:9], v[6:7], v[12:13], v[8:9] op_sel_hi:[0,1,1]
	v_pk_add_f32 v[0:1], v[0:1], v[14:15] neg_lo:[0,1] neg_hi:[0,1]
	v_mov_b32_e32 v17, v9
	v_pk_fma_f32 v[0:1], v[6:7], v[12:13], v[0:1] op_sel_hi:[0,1,1]
	ds_write_b64 v5, v[0:1] offset:1632
	v_mov_b64_e32 v[0:1], v[16:17]
.LBB0_14:
	s_andn2_saveexec_b64 s[0:1], s[0:1]
	s_cbranch_execz .LBB0_16
; %bb.15:
	ds_read_b64 v[2:3], v62 offset:816
	s_mov_b32 s2, 2.0
	s_mov_b32 s3, -2.0
	s_waitcnt lgkmcnt(0)
	v_pk_mul_f32 v[2:3], v[2:3], s[2:3]
	ds_write_b64 v62, v[2:3] offset:816
	v_mov_b64_e32 v[2:3], 0
.LBB0_16:
	s_or_b64 exec, exec, s[0:1]
	s_add_u32 s0, s4, 0x5d8
	s_addc_u32 s1, s5, 0
	v_lshl_add_u64 v[2:3], v[2:3], 3, s[0:1]
	global_load_dwordx2 v[6:7], v[2:3], off offset:136
	global_load_dwordx2 v[8:9], v[2:3], off offset:272
	;; [unrolled: 1-line block ×4, first 2 shown]
	ds_write_b64 v53, v[0:1]
	ds_read_b64 v[0:1], v5 offset:1496
	ds_read_b64 v[14:15], v53 offset:136
	global_load_dwordx2 v[2:3], v[2:3], off offset:680
	v_lshl_add_u32 v54, v34, 3, 0
	v_lshl_add_u32 v35, v4, 3, v54
	v_cmp_gt_u32_e64 s[0:1], 12, v34
	s_waitcnt lgkmcnt(0)
	v_pk_add_f32 v[16:17], v[14:15], v[0:1]
	v_pk_add_f32 v[0:1], v[14:15], v[0:1] neg_lo:[0,1] neg_hi:[0,1]
	v_mov_b32_e32 v14, v17
	v_mov_b32_e32 v15, v0
	v_mov_b32_e32 v17, v1
	s_waitcnt vmcnt(4)
	v_pk_mul_f32 v[18:19], v[14:15], v[6:7] op_sel:[0,1]
	s_nop 0
	v_pk_add_f32 v[20:21], v[16:17], v[18:19] op_sel:[0,1] op_sel_hi:[1,0]
	v_mov_b32_e32 v17, v18
	v_mov_b32_e32 v0, v19
	v_pk_fma_f32 v[18:19], v[6:7], v[14:15], v[20:21] neg_lo:[1,0,0] neg_hi:[1,0,0]
	v_pk_fma_f32 v[20:21], v[6:7], v[14:15], v[20:21] op_sel_hi:[0,1,1]
	v_pk_add_f32 v[0:1], v[16:17], v[0:1] neg_lo:[0,1] neg_hi:[0,1]
	v_mov_b32_e32 v19, v21
	v_pk_fma_f32 v[0:1], v[6:7], v[14:15], v[0:1] op_sel_hi:[0,1,1]
	ds_write_b64 v53, v[18:19] offset:136
	ds_write_b64 v5, v[0:1] offset:1496
	ds_read_b64 v[0:1], v5 offset:1360
	ds_read_b64 v[6:7], v53 offset:272
	s_waitcnt lgkmcnt(0)
	v_pk_add_f32 v[14:15], v[6:7], v[0:1]
	v_pk_add_f32 v[0:1], v[6:7], v[0:1] neg_lo:[0,1] neg_hi:[0,1]
	v_mov_b32_e32 v6, v15
	v_mov_b32_e32 v7, v0
	v_mov_b32_e32 v15, v1
	s_waitcnt vmcnt(3)
	v_pk_mul_f32 v[16:17], v[6:7], v[8:9] op_sel:[0,1]
	s_nop 0
	v_pk_add_f32 v[18:19], v[14:15], v[16:17] op_sel:[0,1] op_sel_hi:[1,0]
	v_mov_b32_e32 v15, v16
	v_mov_b32_e32 v0, v17
	v_pk_fma_f32 v[16:17], v[8:9], v[6:7], v[18:19] neg_lo:[1,0,0] neg_hi:[1,0,0]
	v_pk_fma_f32 v[18:19], v[8:9], v[6:7], v[18:19] op_sel_hi:[0,1,1]
	v_pk_add_f32 v[0:1], v[14:15], v[0:1] neg_lo:[0,1] neg_hi:[0,1]
	v_mov_b32_e32 v17, v19
	v_pk_fma_f32 v[0:1], v[8:9], v[6:7], v[0:1] op_sel_hi:[0,1,1]
	ds_write_b64 v53, v[16:17] offset:272
	ds_write_b64 v5, v[0:1] offset:1360
	ds_read_b64 v[0:1], v5 offset:1224
	ds_read_b64 v[6:7], v53 offset:408
	;; [unrolled: 21-line block ×4, first 2 shown]
	s_waitcnt lgkmcnt(0)
	v_pk_add_f32 v[8:9], v[6:7], v[0:1]
	v_pk_add_f32 v[0:1], v[6:7], v[0:1] neg_lo:[0,1] neg_hi:[0,1]
	v_mov_b32_e32 v6, v9
	v_mov_b32_e32 v7, v0
	;; [unrolled: 1-line block ×3, first 2 shown]
	s_waitcnt vmcnt(0)
	v_pk_mul_f32 v[10:11], v[6:7], v[2:3] op_sel:[0,1]
	s_nop 0
	v_pk_add_f32 v[12:13], v[8:9], v[10:11] op_sel:[0,1] op_sel_hi:[1,0]
	v_mov_b32_e32 v9, v10
	v_mov_b32_e32 v0, v11
	v_pk_fma_f32 v[10:11], v[2:3], v[6:7], v[12:13] neg_lo:[1,0,0] neg_hi:[1,0,0]
	v_pk_fma_f32 v[12:13], v[2:3], v[6:7], v[12:13] op_sel_hi:[0,1,1]
	v_pk_add_f32 v[0:1], v[8:9], v[0:1] neg_lo:[0,1] neg_hi:[0,1]
	v_mov_b32_e32 v11, v13
	v_pk_fma_f32 v[0:1], v[2:3], v[6:7], v[0:1] op_sel_hi:[0,1,1]
	ds_write_b64 v53, v[10:11] offset:680
	ds_write_b64 v5, v[0:1] offset:952
	s_waitcnt lgkmcnt(0)
	s_barrier
	s_barrier
	ds_read_b64 v[200:201], v53
	ds_read2_b64 v[28:31], v35 offset0:12 offset1:24
	ds_read2_b64 v[24:27], v35 offset0:36 offset1:48
	;; [unrolled: 1-line block ×8, first 2 shown]
	s_waitcnt lgkmcnt(0)
	s_barrier
	s_and_saveexec_b64 s[2:3], s[0:1]
	s_cbranch_execz .LBB0_18
; %bb.17:
	v_pk_add_f32 v[46:47], v[2:3], v[28:29]
	v_pk_add_f32 v[48:49], v[28:29], v[2:3] neg_lo:[0,1] neg_hi:[0,1]
	v_pk_add_f32 v[28:29], v[200:201], v[28:29]
	v_pk_add_f32 v[44:45], v[0:1], v[30:31]
	v_pk_add_f32 v[50:51], v[30:31], v[0:1] neg_lo:[0,1] neg_hi:[0,1]
	v_pk_add_f32 v[30:31], v[28:29], v[30:31]
	v_pk_add_f32 v[42:43], v[6:7], v[24:25]
	v_accvgpr_write_b32 a3, v53
	v_pk_add_f32 v[52:53], v[24:25], v[6:7] neg_lo:[0,1] neg_hi:[0,1]
	v_pk_add_f32 v[24:25], v[30:31], v[24:25]
	v_pk_add_f32 v[40:41], v[4:5], v[26:27]
	v_accvgpr_write_b32 a4, v54
	v_pk_add_f32 v[54:55], v[26:27], v[4:5] neg_lo:[0,1] neg_hi:[0,1]
	v_pk_add_f32 v[26:27], v[24:25], v[26:27]
	v_pk_add_f32 v[38:39], v[10:11], v[20:21]
	v_pk_add_f32 v[56:57], v[20:21], v[10:11] neg_lo:[0,1] neg_hi:[0,1]
	v_pk_add_f32 v[20:21], v[26:27], v[20:21]
	v_pk_add_f32 v[28:29], v[8:9], v[22:23]
	;; [unrolled: 3-line block ×4, first 2 shown]
	v_pk_add_f32 v[16:17], v[16:17], v[18:19]
	v_pk_add_f32 v[32:33], v[18:19], v[12:13] neg_lo:[0,1] neg_hi:[0,1]
	v_pk_add_f32 v[12:13], v[16:17], v[12:13]
	s_mov_b32 s36, 0x3f6eb680
	v_pk_add_f32 v[12:13], v[12:13], v[14:15]
	v_mov_b32_e32 v108, v46
	v_pk_add_f32 v[8:9], v[12:13], v[8:9]
	v_mov_b32_e32 v109, v48
	v_pk_add_f32 v[8:9], v[8:9], v[10:11]
	s_mov_b32 s37, 0xbeb8f4ab
	v_pk_add_f32 v[4:5], v[8:9], v[4:5]
	v_accvgpr_write_b32 a2, v62
	v_pk_add_f32 v[4:5], v[4:5], v[6:7]
	s_mov_b32 s44, 0x3f3d2fb0
	v_pk_add_f32 v[0:1], v[4:5], v[0:1]
	v_mov_b32_e32 v46, v49
	v_pk_add_f32 v[62:63], v[0:1], v[2:3]
	v_pk_mul_f32 v[0:1], v[108:109], s[36:37]
	s_mov_b32 s0, s37
	s_mov_b32 s1, s36
	v_accvgpr_write_b32 a9, v1
	v_mov_b32_e32 v122, v44
	v_mov_b32_e32 v123, v50
	s_mov_b32 s45, 0xbf2c7751
	v_pk_fma_f32 v[4:5], v[46:47], s[0:1], v[0:1] neg_lo:[1,0,0] neg_hi:[1,0,0]
	v_pk_fma_f32 v[2:3], v[46:47], s[0:1], v[0:1]
	v_accvgpr_write_b32 a8, v0
	v_pk_mul_f32 v[0:1], v[122:123], s[44:45]
	s_mov_b32 s52, 0x3ee437d1
	v_mov_b32_e32 v44, v51
	s_mov_b32 s6, s45
	s_mov_b32 s7, s44
	v_accvgpr_write_b32 a13, v1
	v_mov_b32_e32 v120, v42
	v_mov_b32_e32 v121, v52
	s_mov_b32 s53, 0xbf65296c
	v_mov_b32_e32 v5, v3
	v_accvgpr_write_b32 a6, v2
	v_pk_fma_f32 v[10:11], v[44:45], s[6:7], v[0:1] neg_lo:[1,0,0] neg_hi:[1,0,0]
	v_pk_fma_f32 v[2:3], v[44:45], s[6:7], v[0:1]
	v_accvgpr_write_b32 a12, v0
	v_pk_mul_f32 v[0:1], v[120:121], s[52:53]
	s_mov_b32 s40, 0x3dbcf732
	v_mov_b32_e32 v42, v53
	s_mov_b32 s8, s53
	s_mov_b32 s9, s52
	v_accvgpr_write_b32 a17, v1
	v_mov_b32_e32 v124, v40
	v_mov_b32_e32 v125, v54
	s_mov_b32 s41, 0xbf7ee86f
	v_mov_b32_e32 v11, v3
	v_accvgpr_write_b32 a10, v2
	v_pk_fma_f32 v[14:15], v[42:43], s[8:9], v[0:1] neg_lo:[1,0,0] neg_hi:[1,0,0]
	v_pk_fma_f32 v[2:3], v[42:43], s[8:9], v[0:1]
	v_accvgpr_write_b32 a16, v0
	v_pk_mul_f32 v[0:1], v[124:125], s[40:41]
	s_mov_b32 s34, 0xbe8c1d8e
	v_pk_add_f32 v[8:9], v[200:201], v[4:5]
	v_mov_b32_e32 v40, v55
	s_mov_b32 s10, s41
	s_mov_b32 s11, s40
	v_accvgpr_write_b32 a21, v1
	v_mov_b32_e32 v126, v38
	v_mov_b32_e32 v127, v56
	s_mov_b32 s35, 0xbf763a35
	v_pk_add_f32 v[12:13], v[10:11], v[8:9]
	v_mov_b32_e32 v15, v3
	v_accvgpr_write_b32 a14, v2
	v_pk_fma_f32 v[18:19], v[40:41], s[10:11], v[0:1] neg_lo:[1,0,0] neg_hi:[1,0,0]
	v_pk_fma_f32 v[2:3], v[40:41], s[10:11], v[0:1]
	v_accvgpr_write_b32 a20, v0
	v_pk_mul_f32 v[0:1], v[126:127], s[34:35]
	s_mov_b32 s38, 0xbf1a4643
	v_pk_add_f32 v[16:17], v[14:15], v[12:13]
	v_mov_b32_e32 v19, v3
	v_mov_b32_e32 v38, v57
	s_mov_b32 s12, s35
	s_mov_b32 s13, s34
	v_accvgpr_write_b32 a23, v1
	v_mov_b32_e32 v128, v28
	v_mov_b32_e32 v129, v58
	s_mov_b32 s39, 0xbf4c4adb
	v_pk_add_f32 v[22:23], v[18:19], v[16:17]
	v_pk_fma_f32 v[26:27], v[38:39], s[12:13], v[0:1] neg_lo:[1,0,0] neg_hi:[1,0,0]
	v_pk_fma_f32 v[18:19], v[38:39], s[12:13], v[0:1]
	v_accvgpr_write_b32 a22, v0
	v_pk_mul_f32 v[0:1], v[128:129], s[38:39]
	s_mov_b32 s42, 0xbf59a7d5
	v_mov_b32_e32 v27, v19
	v_mov_b32_e32 v28, v59
	s_mov_b32 s14, s39
	s_mov_b32 s15, s38
	v_accvgpr_write_b32 a25, v1
	v_mov_b32_e32 v130, v24
	v_mov_b32_e32 v131, v30
	s_mov_b32 s43, 0xbf06c442
	v_pk_add_f32 v[48:49], v[26:27], v[22:23]
	v_pk_fma_f32 v[50:51], v[28:29], s[14:15], v[0:1] neg_lo:[1,0,0] neg_hi:[1,0,0]
	v_pk_fma_f32 v[22:23], v[28:29], s[14:15], v[0:1]
	v_accvgpr_write_b32 a24, v0
	v_mov_b32_e32 v24, v31
	s_mov_b32 s16, s43
	s_mov_b32 s17, s42
	v_pk_mul_f32 v[0:1], v[130:131], s[42:43]
	s_mov_b32 s48, 0xbf7ba420
	v_mov_b32_e32 v51, v23
	v_pk_fma_f32 v[52:53], v[24:25], s[16:17], v[0:1] neg_lo:[1,0,0] neg_hi:[1,0,0]
	v_pk_fma_f32 v[30:31], v[24:25], s[16:17], v[0:1]
	v_accvgpr_write_b32 a27, v1
	v_mov_b32_e32 v132, v20
	v_mov_b32_e32 v133, v32
	s_mov_b32 s49, 0xbe3c28d5
	v_pk_add_f32 v[50:51], v[50:51], v[48:49]
	v_accvgpr_write_b32 a26, v0
	v_mov_b32_e32 v53, v31
	v_mov_b32_e32 v20, v33
	s_mov_b32 s18, s49
	s_mov_b32 s19, s48
	v_pk_mul_f32 v[0:1], v[132:133], s[48:49]
	v_pk_add_f32 v[54:55], v[52:53], v[50:51]
	v_pk_fma_f32 v[56:57], v[20:21], s[18:19], v[0:1] neg_lo:[1,0,0] neg_hi:[1,0,0]
	v_pk_fma_f32 v[50:51], v[20:21], s[18:19], v[0:1]
	v_accvgpr_write_b32 a29, v1
	v_accvgpr_write_b32 a28, v0
	v_mov_b32_e32 v57, v51
	v_mul_u32_u24_e32 v0, 0x88, v34
	v_pk_add_f32 v[54:55], v[56:57], v[54:55]
	v_add3_u32 v16, 0, v0, v64
	v_pk_mul_f32 v[0:1], v[108:109], s[44:45]
	ds_write2_b64 v16, v[62:63], v[54:55] offset1:1
	v_pk_fma_f32 v[58:59], v[46:47], s[6:7], v[0:1] neg_lo:[1,0,0] neg_hi:[1,0,0]
	v_pk_fma_f32 v[54:55], v[46:47], s[6:7], v[0:1]
	v_pk_mul_f32 v[56:57], v[122:123], s[40:41]
	v_mov_b32_e32 v59, v55
	v_pk_add_f32 v[62:63], v[200:201], v[58:59]
	v_mov_b32_e32 v17, v64
	v_pk_fma_f32 v[64:65], v[44:45], s[10:11], v[56:57] neg_lo:[1,0,0] neg_hi:[1,0,0]
	v_pk_fma_f32 v[58:59], v[44:45], s[10:11], v[56:57]
	s_mov_b32 s61, 0x3f06c442
	v_mov_b32_e32 v65, v59
	v_pk_add_f32 v[66:67], v[64:65], v[62:63]
	v_pk_mul_f32 v[64:65], v[120:121], s[38:39]
	s_mov_b32 s60, s42
	v_pk_fma_f32 v[68:69], v[42:43], s[14:15], v[64:65] neg_lo:[1,0,0] neg_hi:[1,0,0]
	v_pk_fma_f32 v[62:63], v[42:43], s[14:15], v[64:65]
	s_mov_b32 s20, s61
	v_mov_b32_e32 v69, v63
	v_pk_add_f32 v[70:71], v[68:69], v[66:67]
	v_pk_mul_f32 v[68:69], v[124:125], s[48:49]
	s_mov_b32 s21, s42
	;; [unrolled: 7-line block ×3, first 2 shown]
	v_pk_fma_f32 v[76:77], v[38:39], s[20:21], v[72:73] neg_lo:[1,0,0] neg_hi:[1,0,0]
	v_pk_fma_f32 v[70:71], v[38:39], s[20:21], v[72:73]
	s_mov_b32 s22, s59
	v_mov_b32_e32 v77, v71
	v_pk_add_f32 v[78:79], v[76:77], v[74:75]
	s_mov_b32 s23, s34
	v_pk_mul_f32 v[76:77], v[128:129], s[58:59]
	s_mov_b32 s51, 0x3f65296c
	v_pk_fma_f32 v[80:81], v[28:29], s[22:23], v[76:77] neg_lo:[1,0,0] neg_hi:[1,0,0]
	v_pk_fma_f32 v[74:75], v[28:29], s[22:23], v[76:77]
	s_mov_b32 s50, s52
	v_mov_b32_e32 v81, v75
	v_pk_add_f32 v[82:83], v[80:81], v[78:79]
	s_mov_b32 s24, s51
	s_mov_b32 s25, s52
	v_pk_mul_f32 v[80:81], v[130:131], s[50:51]
	s_mov_b32 s55, 0x3eb8f4ab
	v_pk_fma_f32 v[84:85], v[24:25], s[24:25], v[80:81] neg_lo:[1,0,0] neg_hi:[1,0,0]
	v_pk_fma_f32 v[78:79], v[24:25], s[24:25], v[80:81]
	s_mov_b32 s54, s36
	v_mov_b32_e32 v85, v79
	v_pk_add_f32 v[86:87], v[84:85], v[82:83]
	s_mov_b32 s26, s55
	s_mov_b32 s27, s36
	v_pk_mul_f32 v[84:85], v[132:133], s[54:55]
	v_pk_mul_f32 v[52:53], v[122:123], s[38:39]
	v_pk_fma_f32 v[88:89], v[20:21], s[26:27], v[84:85] neg_lo:[1,0,0] neg_hi:[1,0,0]
	v_pk_fma_f32 v[82:83], v[20:21], s[26:27], v[84:85]
	v_pk_fma_f32 v[96:97], v[44:45], s[14:15], v[52:53] neg_lo:[1,0,0] neg_hi:[1,0,0]
	v_mov_b32_e32 v89, v83
	v_pk_add_f32 v[134:135], v[88:89], v[86:87]
	v_pk_mul_f32 v[88:89], v[108:109], s[52:53]
	s_mov_b32 s31, 0x3e3c28d5
	v_pk_fma_f32 v[90:91], v[46:47], s[8:9], v[88:89] neg_lo:[1,0,0] neg_hi:[1,0,0]
	v_pk_fma_f32 v[86:87], v[46:47], s[8:9], v[88:89]
	s_mov_b32 s30, s48
	v_mov_b32_e32 v91, v87
	v_pk_add_f32 v[94:95], v[200:201], v[90:91]
	v_pk_fma_f32 v[90:91], v[44:45], s[14:15], v[52:53]
	s_mov_b32 s28, s31
	v_mov_b32_e32 v97, v91
	v_pk_add_f32 v[98:99], v[96:97], v[94:95]
	s_mov_b32 s29, s48
	v_pk_mul_f32 v[96:97], v[120:121], s[30:31]
	s_mov_b32 s57, 0x3f2c7751
	v_pk_fma_f32 v[100:101], v[42:43], s[28:29], v[96:97] neg_lo:[1,0,0] neg_hi:[1,0,0]
	v_pk_fma_f32 v[94:95], v[42:43], s[28:29], v[96:97]
	s_mov_b32 s56, s44
	v_mov_b32_e32 v101, v95
	v_pk_add_f32 v[102:103], v[100:101], v[98:99]
	v_pk_mul_f32 v[100:101], v[124:125], s[58:59]
	s_mov_b32 s30, s57
	v_pk_fma_f32 v[104:105], v[40:41], s[22:23], v[100:101] neg_lo:[1,0,0] neg_hi:[1,0,0]
	v_pk_fma_f32 v[98:99], v[40:41], s[22:23], v[100:101]
	s_mov_b32 s31, s44
	v_mov_b32_e32 v105, v99
	v_pk_add_f32 v[106:107], v[104:105], v[102:103]
	v_pk_mul_f32 v[104:105], v[126:127], s[56:57]
	v_pk_mul_f32 v[48:49], v[122:123], s[48:49]
	v_pk_fma_f32 v[110:111], v[38:39], s[30:31], v[104:105] neg_lo:[1,0,0] neg_hi:[1,0,0]
	v_pk_fma_f32 v[102:103], v[38:39], s[30:31], v[104:105]
	v_pk_fma_f32 v[144:145], v[44:45], s[18:19], v[48:49] neg_lo:[1,0,0] neg_hi:[1,0,0]
	v_mov_b32_e32 v111, v103
	v_pk_add_f32 v[112:113], v[110:111], v[106:107]
	v_pk_mul_f32 v[110:111], v[128:129], s[36:37]
	s_mov_b32 s63, 0x3f4c4adb
	v_pk_fma_f32 v[114:115], v[28:29], s[0:1], v[110:111] neg_lo:[1,0,0] neg_hi:[1,0,0]
	v_pk_fma_f32 v[106:107], v[28:29], s[0:1], v[110:111]
	s_mov_b32 s62, s38
	v_mov_b32_e32 v115, v107
	v_pk_add_f32 v[116:117], v[114:115], v[112:113]
	v_pk_mul_f32 v[114:115], v[130:131], s[40:41]
	s_mov_b32 s46, s63
	v_pk_fma_f32 v[118:119], v[24:25], s[10:11], v[114:115] neg_lo:[1,0,0] neg_hi:[1,0,0]
	v_pk_fma_f32 v[112:113], v[24:25], s[10:11], v[114:115]
	s_mov_b32 s47, s38
	v_mov_b32_e32 v119, v113
	v_pk_add_f32 v[136:137], v[118:119], v[116:117]
	v_pk_mul_f32 v[118:119], v[132:133], s[42:43]
	v_pk_mul_f32 v[26:27], v[122:123], s[60:61]
	v_pk_fma_f32 v[138:139], v[20:21], s[16:17], v[118:119] neg_lo:[1,0,0] neg_hi:[1,0,0]
	v_pk_fma_f32 v[116:117], v[20:21], s[16:17], v[118:119]
	v_pk_fma_f32 v[176:177], v[44:45], s[20:21], v[26:27] neg_lo:[1,0,0] neg_hi:[1,0,0]
	v_mov_b32_e32 v139, v117
	v_pk_add_f32 v[136:137], v[138:139], v[136:137]
	ds_write2_b64 v16, v[134:135], v[136:137] offset0:2 offset1:3
	v_pk_mul_f32 v[136:137], v[108:109], s[40:41]
	s_mov_b32 s61, 0x3f7ee86f
	v_pk_fma_f32 v[138:139], v[46:47], s[10:11], v[136:137] neg_lo:[1,0,0] neg_hi:[1,0,0]
	v_pk_fma_f32 v[134:135], v[46:47], s[10:11], v[136:137]
	s_mov_b32 s60, s40
	v_mov_b32_e32 v139, v135
	v_pk_add_f32 v[142:143], v[200:201], v[138:139]
	v_pk_fma_f32 v[138:139], v[44:45], s[18:19], v[48:49]
	v_pk_mul_f32 v[4:5], v[122:123], s[58:59]
	v_mov_b32_e32 v145, v139
	v_pk_add_f32 v[146:147], v[144:145], v[142:143]
	v_pk_mul_f32 v[144:145], v[120:121], s[58:59]
	v_pk_fma_f32 v[212:213], v[44:45], s[22:23], v[4:5] neg_lo:[1,0,0] neg_hi:[1,0,0]
	v_pk_fma_f32 v[148:149], v[42:43], s[22:23], v[144:145] neg_lo:[1,0,0] neg_hi:[1,0,0]
	v_pk_fma_f32 v[142:143], v[42:43], s[22:23], v[144:145]
	v_pk_fma_f32 v[214:215], v[44:45], s[22:23], v[4:5]
	v_mov_b32_e32 v149, v143
	v_pk_add_f32 v[150:151], v[148:149], v[146:147]
	v_pk_mul_f32 v[148:149], v[124:125], s[54:55]
	v_mov_b32_e32 v213, v215
	v_pk_fma_f32 v[152:153], v[40:41], s[26:27], v[148:149] neg_lo:[1,0,0] neg_hi:[1,0,0]
	v_pk_fma_f32 v[146:147], v[40:41], s[26:27], v[148:149]
	v_pk_mul_f32 v[244:245], v[122:123], s[50:51]
	v_mov_b32_e32 v153, v147
	v_pk_add_f32 v[154:155], v[152:153], v[150:151]
	v_pk_mul_f32 v[152:153], v[126:127], s[52:53]
	v_pk_fma_f32 v[246:247], v[44:45], s[24:25], v[244:245] neg_lo:[1,0,0] neg_hi:[1,0,0]
	v_pk_fma_f32 v[156:157], v[38:39], s[8:9], v[152:153] neg_lo:[1,0,0] neg_hi:[1,0,0]
	v_pk_fma_f32 v[150:151], v[38:39], s[8:9], v[152:153]
	v_pk_fma_f32 v[248:249], v[44:45], s[24:25], v[244:245]
	v_mov_b32_e32 v157, v151
	v_pk_add_f32 v[158:159], v[156:157], v[154:155]
	v_pk_mul_f32 v[156:157], v[128:129], s[42:43]
	v_mov_b32_e32 v247, v249
	v_pk_fma_f32 v[160:161], v[28:29], s[16:17], v[156:157] neg_lo:[1,0,0] neg_hi:[1,0,0]
	v_pk_fma_f32 v[154:155], v[28:29], s[16:17], v[156:157]
	v_accvgpr_write_b32 a31, v1
	v_mov_b32_e32 v161, v155
	v_pk_add_f32 v[162:163], v[160:161], v[158:159]
	v_pk_mul_f32 v[160:161], v[130:131], s[62:63]
	v_accvgpr_write_b32 a30, v0
	v_pk_fma_f32 v[164:165], v[24:25], s[46:47], v[160:161] neg_lo:[1,0,0] neg_hi:[1,0,0]
	v_pk_fma_f32 v[158:159], v[24:25], s[46:47], v[160:161]
	v_accvgpr_write_b32 a18, v2
	v_mov_b32_e32 v165, v159
	v_pk_add_f32 v[166:167], v[164:165], v[162:163]
	v_pk_mul_f32 v[164:165], v[132:133], s[56:57]
	v_accvgpr_write_b32 a0, v60
	v_pk_fma_f32 v[168:169], v[20:21], s[30:31], v[164:165] neg_lo:[1,0,0] neg_hi:[1,0,0]
	v_pk_fma_f32 v[162:163], v[20:21], s[30:31], v[164:165]
	v_accvgpr_write_b32 a1, v61
	v_mov_b32_e32 v169, v163
	v_pk_add_f32 v[204:205], v[168:169], v[166:167]
	v_pk_mul_f32 v[168:169], v[108:109], s[34:35]
	s_nop 0
	v_pk_fma_f32 v[170:171], v[46:47], s[12:13], v[168:169] neg_lo:[1,0,0] neg_hi:[1,0,0]
	v_pk_fma_f32 v[166:167], v[46:47], s[12:13], v[168:169]
	s_nop 0
	v_mov_b32_e32 v171, v167
	v_pk_add_f32 v[174:175], v[200:201], v[170:171]
	v_pk_fma_f32 v[170:171], v[44:45], s[20:21], v[26:27]
	s_nop 0
	v_mov_b32_e32 v177, v171
	v_pk_add_f32 v[178:179], v[176:177], v[174:175]
	v_pk_mul_f32 v[176:177], v[120:121], s[56:57]
	s_nop 0
	v_pk_fma_f32 v[180:181], v[42:43], s[30:31], v[176:177] neg_lo:[1,0,0] neg_hi:[1,0,0]
	v_pk_fma_f32 v[174:175], v[42:43], s[30:31], v[176:177]
	s_nop 0
	v_mov_b32_e32 v181, v175
	v_pk_add_f32 v[182:183], v[180:181], v[178:179]
	v_pk_mul_f32 v[180:181], v[124:125], s[52:53]
	s_mov_b32 s52, s61
	v_pk_fma_f32 v[184:185], v[40:41], s[8:9], v[180:181] neg_lo:[1,0,0] neg_hi:[1,0,0]
	v_pk_fma_f32 v[178:179], v[40:41], s[8:9], v[180:181]
	s_mov_b32 s53, s40
	v_mov_b32_e32 v185, v179
	v_pk_add_f32 v[186:187], v[184:185], v[182:183]
	v_pk_mul_f32 v[184:185], v[126:127], s[48:49]
	s_nop 0
	v_pk_fma_f32 v[188:189], v[38:39], s[18:19], v[184:185] neg_lo:[1,0,0] neg_hi:[1,0,0]
	v_pk_fma_f32 v[182:183], v[38:39], s[18:19], v[184:185]
	s_nop 0
	v_mov_b32_e32 v189, v183
	v_pk_add_f32 v[190:191], v[188:189], v[186:187]
	v_pk_mul_f32 v[188:189], v[128:129], s[60:61]
	s_nop 0
	v_pk_fma_f32 v[192:193], v[28:29], s[52:53], v[188:189] neg_lo:[1,0,0] neg_hi:[1,0,0]
	v_pk_fma_f32 v[186:187], v[28:29], s[52:53], v[188:189]
	s_nop 0
	;; [unrolled: 7-line block ×4, first 2 shown]
	v_mov_b32_e32 v209, v195
	v_pk_add_f32 v[206:207], v[208:209], v[206:207]
	ds_write2_b64 v16, v[204:205], v[206:207] offset0:4 offset1:5
	v_pk_mul_f32 v[204:205], v[108:109], s[38:39]
	s_nop 0
	v_pk_fma_f32 v[206:207], v[46:47], s[14:15], v[204:205] neg_lo:[1,0,0] neg_hi:[1,0,0]
	v_pk_fma_f32 v[208:209], v[46:47], s[14:15], v[204:205]
	s_nop 0
	v_mov_b32_e32 v207, v209
	v_pk_add_f32 v[206:207], v[200:201], v[206:207]
	s_nop 0
	v_pk_add_f32 v[206:207], v[212:213], v[206:207]
	v_pk_mul_f32 v[212:213], v[120:121], s[36:37]
	s_nop 0
	v_pk_fma_f32 v[216:217], v[42:43], s[0:1], v[212:213] neg_lo:[1,0,0] neg_hi:[1,0,0]
	v_pk_fma_f32 v[218:219], v[42:43], s[0:1], v[212:213]
	s_nop 0
	v_mov_b32_e32 v217, v219
	v_pk_add_f32 v[206:207], v[216:217], v[206:207]
	v_pk_mul_f32 v[216:217], v[124:125], s[42:43]
	s_nop 0
	v_pk_fma_f32 v[220:221], v[40:41], s[16:17], v[216:217] neg_lo:[1,0,0] neg_hi:[1,0,0]
	v_pk_fma_f32 v[222:223], v[40:41], s[16:17], v[216:217]
	s_nop 0
	v_mov_b32_e32 v221, v223
	;; [unrolled: 7-line block ×7, first 2 shown]
	v_pk_add_f32 v[240:241], v[200:201], v[240:241]
	s_nop 0
	v_pk_add_f32 v[240:241], v[246:247], v[240:241]
	v_pk_mul_f32 v[246:247], v[120:121], s[40:41]
	v_pk_mul_f32 v[120:121], v[120:121], s[42:43]
	v_pk_fma_f32 v[250:251], v[42:43], s[10:11], v[246:247] neg_lo:[1,0,0] neg_hi:[1,0,0]
	v_pk_fma_f32 v[252:253], v[42:43], s[10:11], v[246:247]
	v_pk_fma_f32 v[60:61], v[42:43], s[16:17], v[120:121]
	v_mov_b32_e32 v251, v253
	v_pk_add_f32 v[240:241], v[250:251], v[240:241]
	v_pk_mul_f32 v[250:251], v[124:125], s[62:63]
	v_pk_mul_f32 v[124:125], v[124:125], s[56:57]
	v_pk_fma_f32 v[254:255], v[40:41], s[46:47], v[250:251] neg_lo:[1,0,0] neg_hi:[1,0,0]
	v_pk_fma_f32 v[0:1], v[40:41], s[46:47], v[250:251]
	v_pk_fma_f32 v[6:7], v[40:41], s[30:31], v[124:125]
	v_mov_b32_e32 v255, v1
	v_pk_add_f32 v[240:241], v[254:255], v[240:241]
	v_pk_mul_f32 v[254:255], v[126:127], s[36:37]
	v_pk_mul_f32 v[126:127], v[126:127], s[38:39]
	v_pk_fma_f32 v[198:199], v[38:39], s[0:1], v[254:255] neg_lo:[1,0,0] neg_hi:[1,0,0]
	v_pk_fma_f32 v[32:33], v[38:39], s[0:1], v[254:255]
	v_pk_fma_f32 v[8:9], v[38:39], s[14:15], v[126:127]
	v_mov_b32_e32 v199, v33
	v_pk_add_f32 v[198:199], v[198:199], v[240:241]
	v_pk_mul_f32 v[240:241], v[128:129], s[48:49]
	v_pk_mul_f32 v[128:129], v[128:129], s[50:51]
	v_pk_fma_f32 v[92:93], v[28:29], s[18:19], v[240:241] neg_lo:[1,0,0] neg_hi:[1,0,0]
	v_pk_fma_f32 v[140:141], v[28:29], s[18:19], v[240:241]
	v_pk_fma_f32 v[10:11], v[28:29], s[24:25], v[128:129]
	v_mov_b32_e32 v93, v141
	v_pk_add_f32 v[92:93], v[92:93], v[198:199]
	v_pk_mul_f32 v[198:199], v[130:131], s[56:57]
	v_pk_mul_f32 v[130:131], v[130:131], s[34:35]
	v_pk_fma_f32 v[172:173], v[24:25], s[30:31], v[198:199] neg_lo:[1,0,0] neg_hi:[1,0,0]
	v_pk_fma_f32 v[2:3], v[24:25], s[30:31], v[198:199]
	v_pk_fma_f32 v[12:13], v[24:25], s[12:13], v[130:131]
	v_mov_b32_e32 v173, v3
	v_pk_add_f32 v[92:93], v[172:173], v[92:93]
	v_pk_mul_f32 v[172:173], v[132:133], s[34:35]
	v_pk_mul_f32 v[132:133], v[132:133], s[60:61]
	v_pk_fma_f32 v[202:203], v[20:21], s[12:13], v[172:173] neg_lo:[1,0,0] neg_hi:[1,0,0]
	v_pk_fma_f32 v[210:211], v[20:21], s[12:13], v[172:173]
	v_pk_fma_f32 v[14:15], v[20:21], s[52:53], v[132:133]
	v_mov_b32_e32 v203, v211
	v_pk_add_f32 v[92:93], v[202:203], v[92:93]
	ds_write2_b64 v16, v[206:207], v[92:93] offset0:6 offset1:7
	v_pk_mul_f32 v[92:93], v[108:109], s[48:49]
	v_pk_mul_f32 v[108:109], v[122:123], s[54:55]
	v_pk_fma_f32 v[122:123], v[46:47], s[18:19], v[92:93] neg_lo:[1,0,0] neg_hi:[1,0,0]
	v_pk_fma_f32 v[202:203], v[46:47], s[18:19], v[92:93]
	v_pk_fma_f32 v[206:207], v[44:45], s[26:27], v[108:109] neg_lo:[1,0,0] neg_hi:[1,0,0]
	v_mov_b32_e32 v123, v203
	v_pk_fma_f32 v[36:37], v[44:45], s[26:27], v[108:109]
	v_pk_add_f32 v[122:123], v[200:201], v[122:123]
	v_mov_b32_e32 v207, v37
	v_pk_fma_f32 v[92:93], v[46:47], s[18:19], v[92:93] neg_lo:[0,0,1] neg_hi:[0,0,1]
	v_pk_add_f32 v[122:123], v[206:207], v[122:123]
	v_pk_fma_f32 v[206:207], v[42:43], s[16:17], v[120:121] neg_lo:[1,0,0] neg_hi:[1,0,0]
	v_mov_b32_e32 v203, v93
	v_pk_fma_f32 v[92:93], v[44:45], s[26:27], v[108:109] neg_lo:[0,0,1] neg_hi:[0,0,1]
	v_mov_b32_e32 v207, v61
	v_mov_b32_e32 v37, v93
	v_pk_add_f32 v[92:93], v[200:201], v[202:203]
	v_pk_add_f32 v[122:123], v[206:207], v[122:123]
	v_pk_fma_f32 v[206:207], v[40:41], s[30:31], v[124:125] neg_lo:[1,0,0] neg_hi:[1,0,0]
	v_pk_add_f32 v[36:37], v[36:37], v[92:93]
	v_pk_fma_f32 v[92:93], v[42:43], s[16:17], v[120:121] neg_lo:[0,0,1] neg_hi:[0,0,1]
	v_mov_b32_e32 v207, v7
	v_mov_b32_e32 v61, v93
	v_pk_add_f32 v[122:123], v[206:207], v[122:123]
	v_pk_fma_f32 v[206:207], v[38:39], s[14:15], v[126:127] neg_lo:[1,0,0] neg_hi:[1,0,0]
	v_pk_add_f32 v[36:37], v[60:61], v[36:37]
	v_pk_fma_f32 v[60:61], v[40:41], s[30:31], v[124:125] neg_lo:[0,0,1] neg_hi:[0,0,1]
	v_mov_b32_e32 v207, v9
	v_mov_b32_e32 v7, v61
	;; [unrolled: 6-line block ×4, first 2 shown]
	v_pk_fma_f32 v[8:9], v[24:25], s[12:13], v[130:131] neg_lo:[0,0,1] neg_hi:[0,0,1]
	v_pk_add_f32 v[122:123], v[206:207], v[122:123]
	v_pk_fma_f32 v[206:207], v[20:21], s[52:53], v[132:133] neg_lo:[1,0,0] neg_hi:[1,0,0]
	v_pk_add_f32 v[6:7], v[10:11], v[6:7]
	v_mov_b32_e32 v13, v9
	v_pk_fma_f32 v[8:9], v[20:21], s[52:53], v[132:133] neg_lo:[0,0,1] neg_hi:[0,0,1]
	v_mov_b32_e32 v207, v15
	v_pk_add_f32 v[6:7], v[12:13], v[6:7]
	v_mov_b32_e32 v15, v9
	v_pk_add_f32 v[122:123], v[206:207], v[122:123]
	v_pk_add_f32 v[6:7], v[14:15], v[6:7]
	ds_write2_b64 v16, v[122:123], v[6:7] offset0:8 offset1:9
	v_pk_fma_f32 v[6:7], v[46:47], s[16:17], v[236:237] neg_lo:[0,0,1] neg_hi:[0,0,1]
	v_pk_fma_f32 v[8:9], v[42:43], s[10:11], v[246:247] neg_lo:[0,0,1] neg_hi:[0,0,1]
	v_mov_b32_e32 v243, v7
	v_pk_fma_f32 v[6:7], v[44:45], s[24:25], v[244:245] neg_lo:[0,0,1] neg_hi:[0,0,1]
	v_mov_b32_e32 v253, v9
	v_mov_b32_e32 v249, v7
	v_pk_add_f32 v[6:7], v[200:201], v[242:243]
	v_pk_fma_f32 v[8:9], v[40:41], s[46:47], v[250:251] neg_lo:[0,0,1] neg_hi:[0,0,1]
	v_pk_add_f32 v[6:7], v[248:249], v[6:7]
	v_mov_b32_e32 v1, v9
	v_pk_add_f32 v[6:7], v[252:253], v[6:7]
	v_accvgpr_read_b32 v61, a1
	v_pk_add_f32 v[0:1], v[0:1], v[6:7]
	v_pk_fma_f32 v[6:7], v[38:39], s[0:1], v[254:255] neg_lo:[0,0,1] neg_hi:[0,0,1]
	v_accvgpr_read_b32 v60, a0
	v_mov_b32_e32 v33, v7
	v_pk_fma_f32 v[6:7], v[28:29], s[18:19], v[240:241] neg_lo:[0,0,1] neg_hi:[0,0,1]
	v_pk_add_f32 v[0:1], v[32:33], v[0:1]
	v_mov_b32_e32 v141, v7
	v_pk_fma_f32 v[6:7], v[24:25], s[30:31], v[198:199] neg_lo:[0,0,1] neg_hi:[0,0,1]
	v_pk_add_f32 v[0:1], v[140:141], v[0:1]
	v_mov_b32_e32 v3, v7
	v_pk_add_f32 v[0:1], v[2:3], v[0:1]
	v_pk_fma_f32 v[2:3], v[20:21], s[12:13], v[172:173] neg_lo:[0,0,1] neg_hi:[0,0,1]
	s_nop 0
	v_mov_b32_e32 v211, v3
	v_pk_fma_f32 v[2:3], v[46:47], s[14:15], v[204:205] neg_lo:[0,0,1] neg_hi:[0,0,1]
	v_pk_add_f32 v[0:1], v[210:211], v[0:1]
	v_mov_b32_e32 v209, v3
	v_pk_fma_f32 v[2:3], v[44:45], s[22:23], v[4:5] neg_lo:[0,0,1] neg_hi:[0,0,1]
	v_pk_fma_f32 v[4:5], v[42:43], s[0:1], v[212:213] neg_lo:[0,0,1] neg_hi:[0,0,1]
	v_mov_b32_e32 v215, v3
	v_pk_add_f32 v[2:3], v[200:201], v[208:209]
	v_mov_b32_e32 v219, v5
	v_pk_add_f32 v[2:3], v[214:215], v[2:3]
	v_pk_fma_f32 v[4:5], v[40:41], s[16:17], v[216:217] neg_lo:[0,0,1] neg_hi:[0,0,1]
	v_pk_add_f32 v[2:3], v[218:219], v[2:3]
	v_mov_b32_e32 v223, v5
	v_pk_fma_f32 v[4:5], v[38:39], s[52:53], v[220:221] neg_lo:[0,0,1] neg_hi:[0,0,1]
	v_pk_add_f32 v[2:3], v[222:223], v[2:3]
	v_mov_b32_e32 v227, v5
	;; [unrolled: 3-line block ×5, first 2 shown]
	v_pk_add_f32 v[2:3], v[238:239], v[2:3]
	ds_write2_b64 v16, v[0:1], v[2:3] offset0:10 offset1:11
	v_pk_fma_f32 v[2:3], v[42:43], s[30:31], v[176:177] neg_lo:[0,0,1] neg_hi:[0,0,1]
	v_pk_fma_f32 v[0:1], v[46:47], s[12:13], v[168:169] neg_lo:[0,0,1] neg_hi:[0,0,1]
	v_mov_b32_e32 v175, v3
	v_pk_fma_f32 v[2:3], v[40:41], s[8:9], v[180:181] neg_lo:[0,0,1] neg_hi:[0,0,1]
	v_mov_b32_e32 v167, v1
	v_mov_b32_e32 v179, v3
	v_pk_fma_f32 v[2:3], v[38:39], s[18:19], v[184:185] neg_lo:[0,0,1] neg_hi:[0,0,1]
	v_pk_fma_f32 v[0:1], v[44:45], s[20:21], v[26:27] neg_lo:[0,0,1] neg_hi:[0,0,1]
	v_mov_b32_e32 v183, v3
	v_pk_fma_f32 v[2:3], v[28:29], s[52:53], v[188:189] neg_lo:[0,0,1] neg_hi:[0,0,1]
	v_mov_b32_e32 v171, v1
	v_mov_b32_e32 v187, v3
	v_pk_fma_f32 v[2:3], v[24:25], s[0:1], v[192:193] neg_lo:[0,0,1] neg_hi:[0,0,1]
	v_pk_add_f32 v[0:1], v[200:201], v[166:167]
	v_mov_b32_e32 v191, v3
	v_pk_fma_f32 v[2:3], v[20:21], s[14:15], v[196:197] neg_lo:[0,0,1] neg_hi:[0,0,1]
	v_pk_fma_f32 v[4:5], v[42:43], s[22:23], v[144:145] neg_lo:[0,0,1] neg_hi:[0,0,1]
	v_mov_b32_e32 v195, v3
	v_pk_fma_f32 v[2:3], v[46:47], s[10:11], v[136:137] neg_lo:[0,0,1] neg_hi:[0,0,1]
	v_pk_add_f32 v[0:1], v[170:171], v[0:1]
	v_mov_b32_e32 v135, v3
	v_pk_fma_f32 v[2:3], v[44:45], s[18:19], v[48:49] neg_lo:[0,0,1] neg_hi:[0,0,1]
	v_mov_b32_e32 v143, v5
	v_mov_b32_e32 v139, v3
	v_pk_add_f32 v[2:3], v[200:201], v[134:135]
	v_pk_fma_f32 v[4:5], v[40:41], s[26:27], v[148:149] neg_lo:[0,0,1] neg_hi:[0,0,1]
	v_pk_add_f32 v[2:3], v[138:139], v[2:3]
	v_pk_add_f32 v[0:1], v[174:175], v[0:1]
	;; [unrolled: 1-line block ×3, first 2 shown]
	v_mov_b32_e32 v147, v5
	v_pk_fma_f32 v[4:5], v[38:39], s[8:9], v[152:153] neg_lo:[0,0,1] neg_hi:[0,0,1]
	v_pk_add_f32 v[0:1], v[178:179], v[0:1]
	v_pk_add_f32 v[2:3], v[146:147], v[2:3]
	v_mov_b32_e32 v151, v5
	v_pk_fma_f32 v[4:5], v[28:29], s[16:17], v[156:157] neg_lo:[0,0,1] neg_hi:[0,0,1]
	v_pk_add_f32 v[0:1], v[182:183], v[0:1]
	v_pk_add_f32 v[2:3], v[150:151], v[2:3]
	v_mov_b32_e32 v155, v5
	v_pk_fma_f32 v[4:5], v[24:25], s[46:47], v[160:161] neg_lo:[0,0,1] neg_hi:[0,0,1]
	v_pk_add_f32 v[0:1], v[186:187], v[0:1]
	v_pk_add_f32 v[2:3], v[154:155], v[2:3]
	v_mov_b32_e32 v159, v5
	v_pk_fma_f32 v[4:5], v[20:21], s[30:31], v[164:165] neg_lo:[0,0,1] neg_hi:[0,0,1]
	v_pk_add_f32 v[0:1], v[190:191], v[0:1]
	v_pk_add_f32 v[2:3], v[158:159], v[2:3]
	v_mov_b32_e32 v163, v5
	v_pk_add_f32 v[0:1], v[194:195], v[0:1]
	v_pk_add_f32 v[2:3], v[162:163], v[2:3]
	ds_write2_b64 v16, v[0:1], v[2:3] offset0:12 offset1:13
	v_pk_fma_f32 v[2:3], v[42:43], s[28:29], v[96:97] neg_lo:[0,0,1] neg_hi:[0,0,1]
	v_pk_fma_f32 v[0:1], v[46:47], s[8:9], v[88:89] neg_lo:[0,0,1] neg_hi:[0,0,1]
	v_mov_b32_e32 v95, v3
	v_pk_fma_f32 v[2:3], v[40:41], s[22:23], v[100:101] neg_lo:[0,0,1] neg_hi:[0,0,1]
	v_mov_b32_e32 v87, v1
	v_mov_b32_e32 v99, v3
	v_pk_fma_f32 v[2:3], v[38:39], s[30:31], v[104:105] neg_lo:[0,0,1] neg_hi:[0,0,1]
	v_pk_fma_f32 v[0:1], v[44:45], s[14:15], v[52:53] neg_lo:[0,0,1] neg_hi:[0,0,1]
	v_mov_b32_e32 v103, v3
	v_pk_fma_f32 v[2:3], v[28:29], s[0:1], v[110:111] neg_lo:[0,0,1] neg_hi:[0,0,1]
	v_mov_b32_e32 v91, v1
	v_mov_b32_e32 v107, v3
	v_pk_fma_f32 v[2:3], v[24:25], s[10:11], v[114:115] neg_lo:[0,0,1] neg_hi:[0,0,1]
	v_pk_add_f32 v[0:1], v[200:201], v[86:87]
	v_mov_b32_e32 v113, v3
	v_pk_fma_f32 v[2:3], v[20:21], s[16:17], v[118:119] neg_lo:[0,0,1] neg_hi:[0,0,1]
	v_pk_fma_f32 v[4:5], v[42:43], s[14:15], v[64:65] neg_lo:[0,0,1] neg_hi:[0,0,1]
	v_mov_b32_e32 v117, v3
	v_accvgpr_read_b32 v2, a30
	v_accvgpr_read_b32 v3, a31
	v_pk_fma_f32 v[2:3], v[46:47], s[6:7], v[2:3] neg_lo:[0,0,1] neg_hi:[0,0,1]
	v_pk_add_f32 v[0:1], v[90:91], v[0:1]
	v_mov_b32_e32 v55, v3
	v_pk_fma_f32 v[2:3], v[44:45], s[10:11], v[56:57] neg_lo:[0,0,1] neg_hi:[0,0,1]
	v_mov_b32_e32 v63, v5
	v_mov_b32_e32 v59, v3
	v_pk_add_f32 v[2:3], v[200:201], v[54:55]
	v_pk_fma_f32 v[4:5], v[40:41], s[18:19], v[68:69] neg_lo:[0,0,1] neg_hi:[0,0,1]
	v_pk_add_f32 v[2:3], v[58:59], v[2:3]
	v_pk_add_f32 v[0:1], v[94:95], v[0:1]
	;; [unrolled: 1-line block ×3, first 2 shown]
	v_mov_b32_e32 v67, v5
	v_pk_fma_f32 v[4:5], v[38:39], s[20:21], v[72:73] neg_lo:[0,0,1] neg_hi:[0,0,1]
	v_pk_add_f32 v[0:1], v[98:99], v[0:1]
	v_pk_add_f32 v[2:3], v[66:67], v[2:3]
	v_mov_b32_e32 v71, v5
	v_pk_fma_f32 v[4:5], v[28:29], s[22:23], v[76:77] neg_lo:[0,0,1] neg_hi:[0,0,1]
	v_pk_add_f32 v[0:1], v[102:103], v[0:1]
	v_pk_add_f32 v[2:3], v[70:71], v[2:3]
	v_mov_b32_e32 v75, v5
	v_pk_fma_f32 v[4:5], v[24:25], s[24:25], v[80:81] neg_lo:[0,0,1] neg_hi:[0,0,1]
	v_pk_add_f32 v[0:1], v[106:107], v[0:1]
	v_pk_add_f32 v[2:3], v[74:75], v[2:3]
	v_mov_b32_e32 v79, v5
	v_pk_fma_f32 v[4:5], v[20:21], s[26:27], v[84:85] neg_lo:[0,0,1] neg_hi:[0,0,1]
	v_pk_add_f32 v[0:1], v[112:113], v[0:1]
	v_pk_add_f32 v[2:3], v[78:79], v[2:3]
	v_mov_b32_e32 v83, v5
	v_pk_add_f32 v[0:1], v[116:117], v[0:1]
	v_pk_add_f32 v[2:3], v[82:83], v[2:3]
	ds_write2_b64 v16, v[0:1], v[2:3] offset0:14 offset1:15
	v_accvgpr_read_b32 v0, a8
	v_accvgpr_read_b32 v1, a9
	;; [unrolled: 1-line block ×3, first 2 shown]
	v_pk_fma_f32 v[0:1], v[46:47], s[0:1], v[0:1] neg_lo:[0,0,1] neg_hi:[0,0,1]
	v_accvgpr_read_b32 v3, a13
	v_accvgpr_read_b32 v0, a6
	v_pk_fma_f32 v[2:3], v[44:45], s[6:7], v[2:3] neg_lo:[0,0,1] neg_hi:[0,0,1]
	v_pk_add_f32 v[0:1], v[200:201], v[0:1]
	v_accvgpr_read_b32 v2, a10
	v_pk_add_f32 v[0:1], v[2:3], v[0:1]
	v_accvgpr_read_b32 v2, a16
	v_accvgpr_read_b32 v3, a17
	v_pk_fma_f32 v[2:3], v[42:43], s[8:9], v[2:3] neg_lo:[0,0,1] neg_hi:[0,0,1]
	v_accvgpr_read_b32 v53, a3
	v_accvgpr_read_b32 v2, a14
	v_pk_add_f32 v[0:1], v[2:3], v[0:1]
	v_accvgpr_read_b32 v2, a20
	v_accvgpr_read_b32 v3, a21
	v_pk_fma_f32 v[2:3], v[40:41], s[10:11], v[2:3] neg_lo:[0,0,1] neg_hi:[0,0,1]
	v_accvgpr_read_b32 v54, a4
	v_accvgpr_read_b32 v2, a18
	v_pk_add_f32 v[0:1], v[2:3], v[0:1]
	v_accvgpr_read_b32 v2, a22
	v_accvgpr_read_b32 v3, a23
	v_pk_fma_f32 v[2:3], v[38:39], s[12:13], v[2:3] neg_lo:[0,0,1] neg_hi:[0,0,1]
	v_mov_b32_e32 v64, v17
	v_mov_b32_e32 v19, v3
	v_accvgpr_read_b32 v2, a24
	v_accvgpr_read_b32 v3, a25
	v_pk_fma_f32 v[2:3], v[28:29], s[14:15], v[2:3] neg_lo:[0,0,1] neg_hi:[0,0,1]
	v_pk_add_f32 v[0:1], v[18:19], v[0:1]
	v_mov_b32_e32 v23, v3
	v_accvgpr_read_b32 v2, a26
	v_accvgpr_read_b32 v3, a27
	v_pk_fma_f32 v[2:3], v[24:25], s[16:17], v[2:3] neg_lo:[0,0,1] neg_hi:[0,0,1]
	v_pk_add_f32 v[0:1], v[22:23], v[0:1]
	;; [unrolled: 5-line block ×3, first 2 shown]
	v_mov_b32_e32 v51, v3
	v_accvgpr_read_b32 v62, a2
	v_pk_add_f32 v[0:1], v[50:51], v[0:1]
	ds_write_b64 v16, v[0:1] offset:128
.LBB0_18:
	s_or_b64 exec, exec, s[2:3]
	v_mul_u32_u24_e32 v0, 3, v34
	v_lshlrev_b32_e32 v4, 3, v0
	s_waitcnt lgkmcnt(0)
	s_barrier
	global_load_dwordx4 v[0:3], v4, s[4:5]
	global_load_dwordx2 v[28:29], v4, s[4:5] offset:16
	v_add_u32_e32 v47, 34, v34
	s_movk_i32 s0, 0xf1
	v_mul_lo_u16_sdwa v4, v47, s0 dst_sel:DWORD dst_unused:UNUSED_PAD src0_sel:BYTE_0 src1_sel:DWORD
	v_lshrrev_b16_e32 v4, 12, v4
	v_mul_lo_u16_e32 v4, 17, v4
	v_mov_b32_e32 v38, 3
	v_sub_u16_e32 v39, v47, v4
	v_mul_u32_u24_sdwa v4, v39, v38 dst_sel:DWORD dst_unused:UNUSED_PAD src0_sel:BYTE_0 src1_sel:DWORD
	v_lshlrev_b32_e32 v8, 3, v4
	global_load_dwordx4 v[4:7], v8, s[4:5]
	global_load_dwordx2 v[30:31], v8, s[4:5] offset:16
	ds_read2_b64 v[8:11], v35 offset0:51 offset1:68
	ds_read2_b64 v[12:15], v35 offset0:85 offset1:102
	;; [unrolled: 1-line block ×5, first 2 shown]
	ds_read_b64 v[32:33], v53
	ds_read_b64 v[36:37], v35 offset:1496
	v_lshlrev_b32_sdwa v38, v38, v39 dst_sel:DWORD dst_unused:UNUSED_PAD src0_sel:DWORD src1_sel:BYTE_0
	v_add3_u32 v52, 0, v38, v64
	s_waitcnt lgkmcnt(0)
	s_barrier
	v_add_u32_e32 v57, v54, v64
	s_mov_b32 s0, 0x3f5db3d7
	s_waitcnt vmcnt(3)
	v_pk_mul_f32 v[38:39], v[0:1], v[8:9] op_sel:[0,1]
	v_pk_mul_f32 v[40:41], v[2:3], v[14:15] op_sel:[0,1]
	s_waitcnt vmcnt(2)
	v_pk_mul_f32 v[42:43], v[28:29], v[16:17] op_sel:[0,1]
	v_pk_mul_f32 v[44:45], v[0:1], v[10:11] op_sel:[0,1]
	v_mov_b32_e32 v46, v3
	v_pk_mul_f32 v[48:49], v[18:19], v[28:29] op_sel:[0,1]
	v_pk_fma_f32 v[50:51], v[0:1], v[8:9], v[38:39] op_sel:[0,0,1] op_sel_hi:[1,1,0] neg_lo:[0,0,1] neg_hi:[0,0,1]
	v_pk_fma_f32 v[8:9], v[0:1], v[8:9], v[38:39] op_sel:[0,0,1] op_sel_hi:[1,0,0]
	v_pk_fma_f32 v[38:39], v[2:3], v[14:15], v[40:41] op_sel:[0,0,1] op_sel_hi:[1,1,0] neg_lo:[0,0,1] neg_hi:[0,0,1]
	v_pk_fma_f32 v[14:15], v[2:3], v[14:15], v[40:41] op_sel:[0,0,1] op_sel_hi:[1,0,0]
	;; [unrolled: 2-line block ×4, first 2 shown]
	v_pk_mul_f32 v[10:11], v[24:25], v[46:47] op_sel_hi:[1,0]
	v_pk_fma_f32 v[44:45], v[18:19], v[28:29], v[48:49] op_sel:[0,0,1] op_sel_hi:[1,1,0] neg_lo:[0,0,1] neg_hi:[0,0,1]
	v_pk_fma_f32 v[18:19], v[18:19], v[28:29], v[48:49] op_sel:[0,0,1] op_sel_hi:[1,0,0]
	v_mov_b32_e32 v51, v9
	v_mov_b32_e32 v39, v15
	v_mov_b32_e32 v41, v17
	v_mov_b32_e32 v43, v1
	v_pk_fma_f32 v[0:1], v[24:25], v[2:3], v[10:11] op_sel:[0,0,1] op_sel_hi:[1,1,0] neg_lo:[0,0,1] neg_hi:[0,0,1]
	v_pk_fma_f32 v[2:3], v[24:25], v[2:3], v[10:11] op_sel:[0,0,1] op_sel_hi:[1,0,0]
	v_mov_b32_e32 v45, v19
	v_pk_add_f32 v[8:9], v[32:33], v[38:39] neg_lo:[0,1] neg_hi:[0,1]
	v_pk_add_f32 v[10:11], v[50:51], v[40:41] neg_lo:[0,1] neg_hi:[0,1]
	v_mov_b32_e32 v1, v3
	v_pk_add_f32 v[2:3], v[42:43], v[44:45] neg_lo:[0,1] neg_hi:[0,1]
	v_pk_fma_f32 v[16:17], v[50:51], 2.0, v[10:11] op_sel_hi:[1,0,1] neg_lo:[0,0,1] neg_hi:[0,0,1]
	v_pk_add_f32 v[18:19], v[8:9], v[10:11] op_sel:[0,1] op_sel_hi:[1,0] neg_lo:[0,1] neg_hi:[0,1]
	v_pk_add_f32 v[10:11], v[8:9], v[10:11] op_sel:[0,1] op_sel_hi:[1,0]
	v_pk_add_f32 v[0:1], v[20:21], v[0:1] neg_lo:[0,1] neg_hi:[0,1]
	v_pk_fma_f32 v[24:25], v[42:43], 2.0, v[2:3] op_sel_hi:[1,0,1] neg_lo:[0,0,1] neg_hi:[0,0,1]
	v_mov_b32_e32 v19, v11
	v_pk_fma_f32 v[10:11], v[20:21], 2.0, v[0:1] op_sel_hi:[1,0,1] neg_lo:[0,0,1] neg_hi:[0,0,1]
	v_pk_add_f32 v[20:21], v[0:1], v[2:3] op_sel:[0,1] op_sel_hi:[1,0] neg_lo:[0,1] neg_hi:[0,1]
	v_pk_add_f32 v[2:3], v[0:1], v[2:3] op_sel:[0,1] op_sel_hi:[1,0]
	s_waitcnt vmcnt(1)
	v_pk_mul_f32 v[28:29], v[12:13], v[4:5] op_sel:[0,1]
	v_mov_b32_e32 v2, v7
	v_pk_fma_f32 v[14:15], v[32:33], 2.0, v[8:9] op_sel_hi:[1,0,1] neg_lo:[0,0,1] neg_hi:[0,0,1]
	s_waitcnt vmcnt(0)
	v_pk_mul_f32 v[32:33], v[36:37], v[30:31] op_sel:[0,1]
	v_mov_b32_e32 v21, v3
	v_pk_fma_f32 v[38:39], v[12:13], v[4:5], v[28:29] op_sel:[0,0,1] op_sel_hi:[1,1,0] neg_lo:[0,0,1] neg_hi:[0,0,1]
	v_pk_fma_f32 v[4:5], v[12:13], v[4:5], v[28:29] op_sel:[0,0,1] op_sel_hi:[1,0,0]
	v_pk_mul_f32 v[2:3], v[26:27], v[2:3] op_sel_hi:[1,0]
	v_pk_fma_f32 v[12:13], v[36:37], v[30:31], v[32:33] op_sel:[0,0,1] op_sel_hi:[1,1,0] neg_lo:[0,0,1] neg_hi:[0,0,1]
	v_pk_fma_f32 v[28:29], v[36:37], v[30:31], v[32:33] op_sel:[0,0,1] op_sel_hi:[1,0,0]
	v_mov_b32_e32 v39, v5
	v_pk_fma_f32 v[4:5], v[26:27], v[6:7], v[2:3] op_sel:[0,0,1] op_sel_hi:[1,1,0] neg_lo:[0,0,1] neg_hi:[0,0,1]
	v_pk_fma_f32 v[2:3], v[26:27], v[6:7], v[2:3] op_sel:[0,0,1] op_sel_hi:[1,0,0]
	v_pk_add_f32 v[16:17], v[14:15], v[16:17] neg_lo:[0,1] neg_hi:[0,1]
	v_mov_b32_e32 v13, v29
	v_mov_b32_e32 v5, v3
	v_pk_fma_f32 v[14:15], v[14:15], 2.0, v[16:17] op_sel_hi:[1,0,1] neg_lo:[0,0,1] neg_hi:[0,0,1]
	v_pk_fma_f32 v[8:9], v[8:9], 2.0, v[18:19] op_sel_hi:[1,0,1] neg_lo:[0,0,1] neg_hi:[0,0,1]
	v_pk_add_f32 v[24:25], v[10:11], v[24:25] neg_lo:[0,1] neg_hi:[0,1]
	v_pk_fma_f32 v[0:1], v[0:1], 2.0, v[20:21] op_sel_hi:[1,0,1] neg_lo:[0,0,1] neg_hi:[0,0,1]
	v_pk_add_f32 v[2:3], v[38:39], v[12:13] neg_lo:[0,1] neg_hi:[0,1]
	v_pk_add_f32 v[4:5], v[22:23], v[4:5] neg_lo:[0,1] neg_hi:[0,1]
	v_pk_fma_f32 v[10:11], v[10:11], 2.0, v[24:25] op_sel_hi:[1,0,1] neg_lo:[0,0,1] neg_hi:[0,0,1]
	ds_write2_b64 v35, v[14:15], v[8:9] offset1:17
	v_pk_fma_f32 v[6:7], v[38:39], 2.0, v[2:3] op_sel_hi:[1,0,1] neg_lo:[0,0,1] neg_hi:[0,0,1]
	v_pk_fma_f32 v[8:9], v[22:23], 2.0, v[4:5] op_sel_hi:[1,0,1] neg_lo:[0,0,1] neg_hi:[0,0,1]
	ds_write2_b64 v35, v[16:17], v[18:19] offset0:34 offset1:51
	ds_write2_b64 v35, v[10:11], v[0:1] offset0:68 offset1:85
	;; [unrolled: 1-line block ×3, first 2 shown]
	v_pk_add_f32 v[0:1], v[4:5], v[2:3] op_sel:[0,1] op_sel_hi:[1,0] neg_lo:[0,1] neg_hi:[0,1]
	v_pk_add_f32 v[2:3], v[4:5], v[2:3] op_sel:[0,1] op_sel_hi:[1,0]
	v_pk_add_f32 v[6:7], v[8:9], v[6:7] neg_lo:[0,1] neg_hi:[0,1]
	v_mov_b32_e32 v1, v3
	v_pk_fma_f32 v[8:9], v[8:9], 2.0, v[6:7] op_sel_hi:[1,0,1] neg_lo:[0,0,1] neg_hi:[0,0,1]
	v_pk_fma_f32 v[2:3], v[4:5], 2.0, v[0:1] op_sel_hi:[1,0,1] neg_lo:[0,0,1] neg_hi:[0,0,1]
	ds_write2_b64 v52, v[8:9], v[2:3] offset0:136 offset1:153
	ds_write2_b64 v52, v[6:7], v[0:1] offset0:170 offset1:187
	v_lshlrev_b32_e32 v0, 1, v34
	v_mov_b32_e32 v1, 0
	v_lshl_add_u64 v[2:3], v[0:1], 3, s[4:5]
	v_add_u32_e32 v4, 34, v0
	v_mov_b32_e32 v5, v1
	v_lshlrev_b32_e32 v8, 1, v47
	v_mov_b32_e32 v9, v1
	v_add_u32_e32 v0, 0x66, v0
	s_waitcnt lgkmcnt(0)
	s_barrier
	v_lshl_add_u64 v[6:7], v[4:5], 3, s[4:5]
	global_load_dwordx4 v[2:5], v[2:3], off offset:408
	v_lshl_add_u64 v[10:11], v[8:9], 3, s[4:5]
	global_load_dwordx4 v[6:9], v[6:7], off offset:408
	;; [unrolled: 2-line block ×3, first 2 shown]
	s_nop 0
	global_load_dwordx4 v[14:17], v[14:15], off offset:408
	ds_read2_b64 v[18:21], v35 offset0:51 offset1:68
	ds_read2_b64 v[22:25], v35 offset0:119 offset1:136
	;; [unrolled: 1-line block ×5, first 2 shown]
	ds_read_b64 v[30:31], v53
	ds_read_b64 v[32:33], v35 offset:1496
	s_waitcnt lgkmcnt(0)
	s_barrier
	s_waitcnt vmcnt(3)
	v_pk_mul_f32 v[44:45], v[2:3], v[20:21] op_sel:[0,1]
	v_pk_mul_f32 v[46:47], v[4:5], v[24:25] op_sel:[0,1]
	s_waitcnt vmcnt(2)
	v_pk_mul_f32 v[48:49], v[6:7], v[26:27] op_sel:[0,1]
	v_pk_mul_f32 v[50:51], v[8:9], v[36:37] op_sel:[0,1]
	v_pk_fma_f32 v[58:59], v[2:3], v[20:21], v[44:45] op_sel:[0,0,1] op_sel_hi:[1,1,0] neg_lo:[0,0,1] neg_hi:[0,0,1]
	v_pk_fma_f32 v[2:3], v[2:3], v[20:21], v[44:45] op_sel:[0,0,1] op_sel_hi:[1,0,0]
	s_waitcnt vmcnt(0)
	v_pk_mul_f32 v[54:55], v[22:23], v[14:15] op_sel:[0,1]
	v_mov_b32_e32 v56, v17
	v_pk_fma_f32 v[20:21], v[4:5], v[24:25], v[46:47] op_sel:[0,0,1] op_sel_hi:[1,1,0] neg_lo:[0,0,1] neg_hi:[0,0,1]
	v_pk_fma_f32 v[4:5], v[4:5], v[24:25], v[46:47] op_sel:[0,0,1] op_sel_hi:[1,0,0]
	v_pk_mul_f32 v[52:53], v[10:11], v[28:29] op_sel:[0,1]
	v_pk_fma_f32 v[24:25], v[6:7], v[26:27], v[48:49] op_sel:[0,0,1] op_sel_hi:[1,1,0] neg_lo:[0,0,1] neg_hi:[0,0,1]
	v_pk_fma_f32 v[6:7], v[6:7], v[26:27], v[48:49] op_sel:[0,0,1] op_sel_hi:[1,0,0]
	v_pk_fma_f32 v[26:27], v[8:9], v[36:37], v[50:51] op_sel:[0,0,1] op_sel_hi:[1,1,0] neg_lo:[0,0,1] neg_hi:[0,0,1]
	v_pk_fma_f32 v[8:9], v[8:9], v[36:37], v[50:51] op_sel:[0,0,1] op_sel_hi:[1,0,0]
	;; [unrolled: 2-line block ×3, first 2 shown]
	v_pk_mul_f32 v[22:23], v[32:33], v[56:57] op_sel_hi:[1,0]
	v_mov_b32_e32 v59, v3
	v_mov_b32_e32 v21, v5
	;; [unrolled: 1-line block ×3, first 2 shown]
	v_pk_fma_f32 v[36:37], v[10:11], v[28:29], v[52:53] op_sel:[0,0,1] op_sel_hi:[1,1,0] neg_lo:[0,0,1] neg_hi:[0,0,1]
	v_pk_fma_f32 v[10:11], v[10:11], v[28:29], v[52:53] op_sel:[0,0,1] op_sel_hi:[1,0,0]
	v_mov_b32_e32 v25, v7
	v_mov_b32_e32 v27, v9
	v_mov_b32_e32 v45, v15
	v_pk_fma_f32 v[6:7], v[32:33], v[16:17], v[22:23] op_sel:[0,0,1] op_sel_hi:[1,1,0] neg_lo:[0,0,1] neg_hi:[0,0,1]
	v_pk_fma_f32 v[8:9], v[32:33], v[16:17], v[22:23] op_sel:[0,0,1] op_sel_hi:[1,0,0]
	v_pk_add_f32 v[14:15], v[58:59], v[20:21]
	v_pk_add_f32 v[16:17], v[58:59], v[20:21] neg_lo:[0,1] neg_hi:[0,1]
	v_pk_mul_f32 v[28:29], v[38:39], v[0:1] op_sel_hi:[1,0]
	v_mov_b32_e32 v37, v11
	v_pk_add_f32 v[10:11], v[30:31], v[58:59]
	v_pk_fma_f32 v[14:15], v[14:15], 0.5, v[30:31] op_sel_hi:[1,0,1] neg_lo:[1,0,0] neg_hi:[1,0,0]
	v_pk_mul_f32 v[16:17], v[16:17], s[0:1] op_sel_hi:[1,0]
	v_pk_fma_f32 v[2:3], v[38:39], v[12:13], v[28:29] op_sel:[0,0,1] op_sel_hi:[1,1,0] neg_lo:[0,0,1] neg_hi:[0,0,1]
	v_pk_fma_f32 v[4:5], v[38:39], v[12:13], v[28:29] op_sel:[0,0,1] op_sel_hi:[1,0,0]
	v_pk_add_f32 v[12:13], v[40:41], v[24:25]
	v_pk_add_f32 v[10:11], v[10:11], v[20:21]
	v_pk_add_f32 v[20:21], v[14:15], v[16:17] op_sel:[0,1] op_sel_hi:[1,0]
	v_pk_add_f32 v[14:15], v[14:15], v[16:17] op_sel:[0,1] op_sel_hi:[1,0] neg_lo:[0,1] neg_hi:[0,1]
	v_pk_add_f32 v[12:13], v[12:13], v[26:27]
	v_mov_b32_e32 v16, v20
	v_mov_b32_e32 v17, v15
	;; [unrolled: 1-line block ×3, first 2 shown]
	ds_write2_b64 v35, v[16:17], v[14:15] offset0:68 offset1:136
	ds_write2_b64 v35, v[10:11], v[12:13] offset1:17
	v_pk_add_f32 v[10:11], v[24:25], v[26:27]
	v_pk_add_f32 v[12:13], v[24:25], v[26:27] neg_lo:[0,1] neg_hi:[0,1]
	v_mov_b32_e32 v3, v5
	v_pk_add_f32 v[4:5], v[42:43], v[36:37]
	v_mov_b32_e32 v7, v9
	v_pk_add_f32 v[8:9], v[18:19], v[44:45]
	v_pk_fma_f32 v[10:11], v[10:11], 0.5, v[40:41] op_sel_hi:[1,0,1] neg_lo:[1,0,0] neg_hi:[1,0,0]
	v_pk_mul_f32 v[12:13], v[12:13], s[0:1] op_sel_hi:[1,0]
	v_pk_add_f32 v[4:5], v[4:5], v[2:3]
	v_pk_add_f32 v[8:9], v[8:9], v[6:7]
	v_pk_add_f32 v[14:15], v[10:11], v[12:13] op_sel:[0,1] op_sel_hi:[1,0]
	v_pk_add_f32 v[10:11], v[10:11], v[12:13] op_sel:[0,1] op_sel_hi:[1,0] neg_lo:[0,1] neg_hi:[0,1]
	v_mov_b32_e32 v12, v14
	v_mov_b32_e32 v13, v11
	;; [unrolled: 1-line block ×3, first 2 shown]
	v_pk_add_f32 v[14:15], v[36:37], v[2:3]
	v_pk_add_f32 v[2:3], v[36:37], v[2:3] neg_lo:[0,1] neg_hi:[0,1]
	ds_write2_b64 v35, v[4:5], v[8:9] offset0:34 offset1:51
	v_pk_add_f32 v[4:5], v[44:45], v[6:7]
	v_pk_add_f32 v[6:7], v[44:45], v[6:7] neg_lo:[0,1] neg_hi:[0,1]
	v_pk_fma_f32 v[14:15], v[14:15], 0.5, v[42:43] op_sel_hi:[1,0,1] neg_lo:[1,0,0] neg_hi:[1,0,0]
	v_pk_mul_f32 v[2:3], v[2:3], s[0:1] op_sel_hi:[1,0]
	v_pk_fma_f32 v[4:5], v[4:5], 0.5, v[18:19] op_sel_hi:[1,0,1] neg_lo:[1,0,0] neg_hi:[1,0,0]
	v_pk_mul_f32 v[6:7], v[6:7], s[0:1] op_sel_hi:[1,0]
	v_pk_add_f32 v[16:17], v[14:15], v[2:3] op_sel:[0,1] op_sel_hi:[1,0]
	v_pk_add_f32 v[2:3], v[14:15], v[2:3] op_sel:[0,1] op_sel_hi:[1,0] neg_lo:[0,1] neg_hi:[0,1]
	v_pk_add_f32 v[8:9], v[4:5], v[6:7] op_sel:[0,1] op_sel_hi:[1,0]
	v_pk_add_f32 v[4:5], v[4:5], v[6:7] op_sel:[0,1] op_sel_hi:[1,0] neg_lo:[0,1] neg_hi:[0,1]
	v_mov_b32_e32 v14, v16
	v_mov_b32_e32 v15, v3
	;; [unrolled: 1-line block ×6, first 2 shown]
	ds_write2_b64 v57, v[12:13], v[14:15] offset0:85 offset1:102
	ds_write2_b64 v57, v[6:7], v[10:11] offset0:119 offset1:153
	;; [unrolled: 1-line block ×3, first 2 shown]
	s_waitcnt lgkmcnt(0)
	s_barrier
	s_and_saveexec_b64 s[0:1], vcc
	s_cbranch_execz .LBB0_20
; %bb.19:
	v_lshl_add_u32 v12, v34, 3, v62
	ds_read2_b64 v[2:5], v12 offset1:17
	ds_read2_b64 v[6:9], v12 offset0:34 offset1:51
	v_mov_b32_e32 v35, v1
	v_add_u32_e32 v0, 17, v34
	v_lshl_add_u64 v[10:11], v[34:35], 3, v[60:61]
	s_waitcnt lgkmcnt(1)
	global_store_dwordx2 v[10:11], v[2:3], off
	v_lshl_add_u64 v[2:3], v[0:1], 3, v[60:61]
	v_add_u32_e32 v0, 34, v34
	global_store_dwordx2 v[2:3], v[4:5], off
	v_lshl_add_u64 v[2:3], v[0:1], 3, v[60:61]
	s_waitcnt lgkmcnt(0)
	global_store_dwordx2 v[2:3], v[6:7], off
	ds_read2_b64 v[2:5], v12 offset0:68 offset1:85
	v_add_u32_e32 v0, 51, v34
	v_lshl_add_u64 v[6:7], v[0:1], 3, v[60:61]
	v_add_u32_e32 v0, 0x44, v34
	global_store_dwordx2 v[6:7], v[8:9], off
	v_lshl_add_u64 v[6:7], v[0:1], 3, v[60:61]
	s_waitcnt lgkmcnt(0)
	global_store_dwordx2 v[6:7], v[2:3], off
	ds_read2_b64 v[6:9], v12 offset0:102 offset1:119
	v_add_u32_e32 v0, 0x55, v34
	;; [unrolled: 8-line block ×4, first 2 shown]
	v_lshl_add_u64 v[2:3], v[0:1], 3, v[60:61]
	v_add_u32_e32 v0, 0xaa, v34
	global_store_dwordx2 v[2:3], v[4:5], off
	v_lshl_add_u64 v[2:3], v[0:1], 3, v[60:61]
	v_add_u32_e32 v0, 0xbb, v34
	v_lshl_add_u64 v[0:1], v[0:1], 3, v[60:61]
	s_waitcnt lgkmcnt(0)
	global_store_dwordx2 v[2:3], v[6:7], off
	global_store_dwordx2 v[0:1], v[8:9], off
.LBB0_20:
	s_endpgm
	.section	.rodata,"a",@progbits
	.p2align	6, 0x0
	.amdhsa_kernel fft_rtc_fwd_len204_factors_17_4_3_wgs_119_tpt_17_halfLds_sp_ip_CI_unitstride_sbrr_C2R_dirReg
		.amdhsa_group_segment_fixed_size 0
		.amdhsa_private_segment_fixed_size 0
		.amdhsa_kernarg_size 88
		.amdhsa_user_sgpr_count 2
		.amdhsa_user_sgpr_dispatch_ptr 0
		.amdhsa_user_sgpr_queue_ptr 0
		.amdhsa_user_sgpr_kernarg_segment_ptr 1
		.amdhsa_user_sgpr_dispatch_id 0
		.amdhsa_user_sgpr_kernarg_preload_length 0
		.amdhsa_user_sgpr_kernarg_preload_offset 0
		.amdhsa_user_sgpr_private_segment_size 0
		.amdhsa_uses_dynamic_stack 0
		.amdhsa_enable_private_segment 0
		.amdhsa_system_sgpr_workgroup_id_x 1
		.amdhsa_system_sgpr_workgroup_id_y 0
		.amdhsa_system_sgpr_workgroup_id_z 0
		.amdhsa_system_sgpr_workgroup_info 0
		.amdhsa_system_vgpr_workitem_id 0
		.amdhsa_next_free_vgpr 288
		.amdhsa_next_free_sgpr 64
		.amdhsa_accum_offset 256
		.amdhsa_reserve_vcc 1
		.amdhsa_float_round_mode_32 0
		.amdhsa_float_round_mode_16_64 0
		.amdhsa_float_denorm_mode_32 3
		.amdhsa_float_denorm_mode_16_64 3
		.amdhsa_dx10_clamp 1
		.amdhsa_ieee_mode 1
		.amdhsa_fp16_overflow 0
		.amdhsa_tg_split 0
		.amdhsa_exception_fp_ieee_invalid_op 0
		.amdhsa_exception_fp_denorm_src 0
		.amdhsa_exception_fp_ieee_div_zero 0
		.amdhsa_exception_fp_ieee_overflow 0
		.amdhsa_exception_fp_ieee_underflow 0
		.amdhsa_exception_fp_ieee_inexact 0
		.amdhsa_exception_int_div_zero 0
	.end_amdhsa_kernel
	.text
.Lfunc_end0:
	.size	fft_rtc_fwd_len204_factors_17_4_3_wgs_119_tpt_17_halfLds_sp_ip_CI_unitstride_sbrr_C2R_dirReg, .Lfunc_end0-fft_rtc_fwd_len204_factors_17_4_3_wgs_119_tpt_17_halfLds_sp_ip_CI_unitstride_sbrr_C2R_dirReg
                                        ; -- End function
	.section	.AMDGPU.csdata,"",@progbits
; Kernel info:
; codeLenInByte = 9428
; NumSgprs: 70
; NumVgprs: 256
; NumAgprs: 32
; TotalNumVgprs: 288
; ScratchSize: 0
; MemoryBound: 0
; FloatMode: 240
; IeeeMode: 1
; LDSByteSize: 0 bytes/workgroup (compile time only)
; SGPRBlocks: 8
; VGPRBlocks: 35
; NumSGPRsForWavesPerEU: 70
; NumVGPRsForWavesPerEU: 288
; AccumOffset: 256
; Occupancy: 1
; WaveLimiterHint : 1
; COMPUTE_PGM_RSRC2:SCRATCH_EN: 0
; COMPUTE_PGM_RSRC2:USER_SGPR: 2
; COMPUTE_PGM_RSRC2:TRAP_HANDLER: 0
; COMPUTE_PGM_RSRC2:TGID_X_EN: 1
; COMPUTE_PGM_RSRC2:TGID_Y_EN: 0
; COMPUTE_PGM_RSRC2:TGID_Z_EN: 0
; COMPUTE_PGM_RSRC2:TIDIG_COMP_CNT: 0
; COMPUTE_PGM_RSRC3_GFX90A:ACCUM_OFFSET: 63
; COMPUTE_PGM_RSRC3_GFX90A:TG_SPLIT: 0
	.text
	.p2alignl 6, 3212836864
	.fill 256, 4, 3212836864
	.type	__hip_cuid_5ecc0b86b0977365,@object ; @__hip_cuid_5ecc0b86b0977365
	.section	.bss,"aw",@nobits
	.globl	__hip_cuid_5ecc0b86b0977365
__hip_cuid_5ecc0b86b0977365:
	.byte	0                               ; 0x0
	.size	__hip_cuid_5ecc0b86b0977365, 1

	.ident	"AMD clang version 19.0.0git (https://github.com/RadeonOpenCompute/llvm-project roc-6.4.0 25133 c7fe45cf4b819c5991fe208aaa96edf142730f1d)"
	.section	".note.GNU-stack","",@progbits
	.addrsig
	.addrsig_sym __hip_cuid_5ecc0b86b0977365
	.amdgpu_metadata
---
amdhsa.kernels:
  - .agpr_count:     32
    .args:
      - .actual_access:  read_only
        .address_space:  global
        .offset:         0
        .size:           8
        .value_kind:     global_buffer
      - .offset:         8
        .size:           8
        .value_kind:     by_value
      - .actual_access:  read_only
        .address_space:  global
        .offset:         16
        .size:           8
        .value_kind:     global_buffer
      - .actual_access:  read_only
        .address_space:  global
        .offset:         24
        .size:           8
        .value_kind:     global_buffer
      - .offset:         32
        .size:           8
        .value_kind:     by_value
      - .actual_access:  read_only
        .address_space:  global
        .offset:         40
        .size:           8
        .value_kind:     global_buffer
      - .actual_access:  read_only
        .address_space:  global
        .offset:         48
        .size:           8
        .value_kind:     global_buffer
      - .offset:         56
        .size:           4
        .value_kind:     by_value
      - .actual_access:  read_only
        .address_space:  global
        .offset:         64
        .size:           8
        .value_kind:     global_buffer
      - .actual_access:  read_only
        .address_space:  global
        .offset:         72
        .size:           8
        .value_kind:     global_buffer
      - .address_space:  global
        .offset:         80
        .size:           8
        .value_kind:     global_buffer
    .group_segment_fixed_size: 0
    .kernarg_segment_align: 8
    .kernarg_segment_size: 88
    .language:       OpenCL C
    .language_version:
      - 2
      - 0
    .max_flat_workgroup_size: 119
    .name:           fft_rtc_fwd_len204_factors_17_4_3_wgs_119_tpt_17_halfLds_sp_ip_CI_unitstride_sbrr_C2R_dirReg
    .private_segment_fixed_size: 0
    .sgpr_count:     70
    .sgpr_spill_count: 0
    .symbol:         fft_rtc_fwd_len204_factors_17_4_3_wgs_119_tpt_17_halfLds_sp_ip_CI_unitstride_sbrr_C2R_dirReg.kd
    .uniform_work_group_size: 1
    .uses_dynamic_stack: false
    .vgpr_count:     288
    .vgpr_spill_count: 0
    .wavefront_size: 64
amdhsa.target:   amdgcn-amd-amdhsa--gfx950
amdhsa.version:
  - 1
  - 2
...

	.end_amdgpu_metadata
